;; amdgpu-corpus repo=ROCm/aiter kind=harvested arch=n/a opt=n/a

/root/src/amdgpu-assembly/repos/ROCm__aiter/hsa/gfx942/fmoe_2stages/fmoe_stage1_bf16_pertokenFp8_g1u1_112x64_pf3.co:	file format elf64-amdgpu

Disassembly of section .text:

0000000000002a00 <_ZN5aiter44fmoe_stage1_bf16_pertokenFp8_g1u1_112x64_pf3E>:
	s_and_b32 s1, s1, 0xffff                                   // 000000002A00: 8601FF01 0000FFFF
	s_load_dwordx2 s[8:9], s[0:1], 0x0                         // 000000002A08: C0060200 00000000
	s_load_dwordx2 s[20:21], s[0:1], 0x10                      // 000000002A10: C0060500 00000010
	s_load_dwordx2 s[24:25], s[0:1], 0x20                      // 000000002A18: C0060600 00000020
	s_load_dwordx2 s[48:49], s[0:1], 0x30                      // 000000002A20: C0060C00 00000030
	s_load_dwordx2 s[28:29], s[0:1], 0x40                      // 000000002A28: C0060700 00000040
	s_load_dwordx2 s[32:33], s[0:1], 0x50                      // 000000002A30: C0060800 00000050
	s_load_dwordx2 s[36:37], s[0:1], 0x60                      // 000000002A38: C0060900 00000060
	s_load_dwordx2 s[12:13], s[0:1], 0x70                      // 000000002A40: C0060300 00000070
	s_load_dwordx2 s[44:45], s[0:1], 0x80                      // 000000002A48: C0060B00 00000080
	s_mov_b32 s89, 0                                           // 000000002A50: BED90080
	s_load_dword s64, s[0:1], 0x90                             // 000000002A54: C0021000 00000090
	s_load_dword s65, s[0:1], 0xa0                             // 000000002A5C: C0021040 000000A0
	s_load_dword s66, s[0:1], 0xb0                             // 000000002A64: C0021080 000000B0
	s_load_dword s67, s[0:1], 0xc0                             // 000000002A6C: C00210C0 000000C0
	s_load_dword s68, s[0:1], 0xd0                             // 000000002A74: C0021100 000000D0
	s_load_dword s69, s[0:1], 0xe0                             // 000000002A7C: C0021140 000000E0
	s_load_dword s71, s[0:1], 0xf0                             // 000000002A84: C00211C0 000000F0
	s_load_dword s72, s[0:1], 0x100                            // 000000002A8C: C0021200 00000100
	s_load_dword s74, s[0:1], 0x110                            // 000000002A94: C0021280 00000110
	s_load_dword s76, s[0:1], 0x120                            // 000000002A9C: C0021300 00000120
	s_load_dword s56, s[0:1], 0x130                            // 000000002AA4: C0020E00 00000130
	s_load_dword s88, s[0:1], 0x140                            // 000000002AAC: C0021600 00000140
	s_load_dword s89, s[0:1], 0x150                            // 000000002AB4: C0021640 00000150
	v_lshrrev_b32_e32 v1, 10, v0                               // 000000002ABC: 2002008A
	v_lshrrev_b32_e32 v2, 10, v1                               // 000000002AC0: 2004028A
	v_and_b32_e32 v2, 0x3ff, v2                                // 000000002AC4: 260404FF 000003FF
	v_and_b32_e32 v1, 0x3ff, v1                                // 000000002ACC: 260202FF 000003FF
	v_and_b32_e32 v0, 0x3ff, v0                                // 000000002AD4: 260000FF 000003FF
	v_lshrrev_b32_e32 v3, 6, v0                                // 000000002ADC: 20060086
	v_and_b32_e32 v0, 63, v0                                   // 000000002AE0: 260000BF
	s_mov_b32 s2, s2                                           // 000000002AE4: BE820002
	s_mov_b32 s3, s3                                           // 000000002AE8: BE830003
	s_mov_b32 s4, s4                                           // 000000002AEC: BE840004
	v_readfirstlane_b32 s7, v3                                 // 000000002AF0: 7E0E0503
	s_waitcnt lgkmcnt(0)                                       // 000000002AF4: BF8CC07F
	s_and_b32 s49, s49, 0xffff                                 // 000000002AF8: 8631FF31 0000FFFF
	s_load_dword s48, s[48:49], 0x0                            // 000000002B00: C0020C18 00000000
	s_and_b32 s45, s45, 0xffff                                 // 000000002B08: 862DFF2D 0000FFFF
	s_and_b32 s9, s9, 0xffff                                   // 000000002B10: 8609FF09 0000FFFF
	s_mul_i32 s60, s66, s68                                    // 000000002B18: 923C4442
	s_mul_i32 s61, s66, 4                                      // 000000002B1C: 923D8442
	s_mov_b32 s22, s60                                         // 000000002B20: BE96003C
	s_mov_b32 s26, -16                                         // 000000002B24: BE9A00D0
	s_mov_b32 s30, s61                                         // 000000002B28: BE9E003D
	s_mov_b32 s14, 0x1c0                                       // 000000002B2C: BE8E00FF 000001C0
	s_mov_b32 s38, -16                                         // 000000002B34: BEA600D0
	s_mov_b32 s10, -16                                         // 000000002B38: BE8A00D0
	s_mov_b32 s34, 0x100                                       // 000000002B3C: BEA200FF 00000100
	s_mov_b32 s23, 0x20000                                     // 000000002B44: BE9700FF 00020000
	s_mov_b32 s27, 0x20000                                     // 000000002B4C: BE9B00FF 00020000
	s_mov_b32 s31, 0x20000                                     // 000000002B54: BE9F00FF 00020000
	s_mov_b32 s35, 0x20000                                     // 000000002B5C: BEA300FF 00020000
	s_mov_b32 s15, 0x20000                                     // 000000002B64: BE8F00FF 00020000
	s_mov_b32 s39, 0x20000                                     // 000000002B6C: BEA700FF 00020000
	s_mov_b32 s11, 0x20000                                     // 000000002B74: BE8B00FF 00020000
	s_and_b32 s21, s21, 0xffff                                 // 000000002B7C: 8615FF15 0000FFFF
	s_and_b32 s25, s25, 0xffff                                 // 000000002B84: 8619FF19 0000FFFF
	s_and_b32 s29, s29, 0xffff                                 // 000000002B8C: 861DFF1D 0000FFFF
	s_and_b32 s33, s33, 0xffff                                 // 000000002B94: 8621FF21 0000FFFF
	s_and_b32 s13, s13, 0xffff                                 // 000000002B9C: 860DFF0D 0000FFFF
	s_and_b32 s37, s37, 0xffff                                 // 000000002BA4: 8625FF25 0000FFFF
	s_or_b32 s21, s21, 0x40000                                 // 000000002BAC: 8715FF15 00040000
	s_or_b32 s25, s25, 0x40000                                 // 000000002BB4: 8719FF19 00040000
	s_or_b32 s29, s29, 0x40000                                 // 000000002BBC: 871DFF1D 00040000
	s_or_b32 s33, s33, 0x40000                                 // 000000002BC4: 8721FF21 00040000
	s_or_b32 s13, s13, 0x40000                                 // 000000002BCC: 870DFF0D 00040000
	s_or_b32 s37, s37, 0x40000                                 // 000000002BD4: 8725FF25 00040000
	v_accvgpr_write_b32 a135, 0                                // 000000002BDC: D3D94087 18000080
	v_mov_b32_e32 v131, 0                                      // 000000002BE4: 7F060280
	s_waitcnt lgkmcnt(0)                                       // 000000002BE8: BF8CC07F
	s_mul_i32 s60, s3, 0x70                                    // 000000002BEC: 923CFF03 00000070
	s_cmp_lt_i32 s60, s48                                      // 000000002BF4: BF04303C
	s_cbranch_scc0 label_257F                                  // 000000002BF8: BF8424FD
	s_mov_b32 s80, 0                                           // 000000002BFC: BED00080
	s_lshr_b32 s81, s64, s88                                   // 000000002C00: 8F515840
	s_mul_i32 s60, s3, 4                                       // 000000002C04: 923C8403
	s_add_u32 s44, s60, s44                                    // 000000002C08: 802C2C3C
	s_addc_u32 s45, 0, s45                                     // 000000002C0C: 822D2D80
	s_load_dword s5, s[44:45], 0x0                             // 000000002C10: C0020156 00000000
	s_mul_i32 s60, s3, 0x70                                    // 000000002C18: 923CFF03 00000070
	s_mul_i32 s60, 4, s60                                      // 000000002C20: 923C3C84
	s_add_u32 s12, s60, s12                                    // 000000002C24: 800C0C3C
	s_addc_u32 s13, 0, s13                                     // 000000002C28: 820D0D80
	v_and_b32_e32 v4, 15, v0                                   // 000000002C2C: 2608008F
	v_lshlrev_b32_e32 v4, 2, v4                                // 000000002C30: 24080882
	buffer_load_dword v30, v4, s[12:15], 0 offen               // 000000002C34: E0501000 80031E04
	v_add_u32_e32 v4, 64, v4                                   // 000000002C3C: 680808C0
	buffer_load_dword v31, v4, s[12:15], 0 offen               // 000000002C40: E0501000 80031F04
	v_add_u32_e32 v4, 64, v4                                   // 000000002C48: 680808C0
	buffer_load_dword v32, v4, s[12:15], 0 offen               // 000000002C4C: E0501000 80032004
	v_add_u32_e32 v4, 64, v4                                   // 000000002C54: 680808C0
	buffer_load_dword v33, v4, s[12:15], 0 offen               // 000000002C58: E0501000 80032104
	v_add_u32_e32 v4, 64, v4                                   // 000000002C60: 680808C0
	buffer_load_dword v34, v4, s[12:15], 0 offen               // 000000002C64: E0501000 80032204
	v_add_u32_e32 v4, 64, v4                                   // 000000002C6C: 680808C0
	buffer_load_dword v35, v4, s[12:15], 0 offen               // 000000002C70: E0501000 80032304
	v_add_u32_e32 v4, 64, v4                                   // 000000002C78: 680808C0
	buffer_load_dword v36, v4, s[12:15], 0 offen               // 000000002C7C: E0501000 80032404
	v_add_u32_e32 v4, 64, v4                                   // 000000002C84: 680808C0
	s_mul_i32 s60, 4, s7                                       // 000000002C88: 923C0784
	v_lshlrev_b32_e32 v4, 4, v0                                // 000000002C8C: 24080084
	v_add_u32_e32 v4, s60, v4                                  // 000000002C90: 6808083C
	buffer_load_dword v3, v4, s[12:15], 0 offen                // 000000002C94: E0501000 80030304
	v_mov_b32_e32 v76, 0                                       // 000000002C9C: 7E980280
	v_mov_b32_e32 v104, 0                                      // 000000002CA0: 7ED00280
	v_mov_b32_e32 v77, 0                                       // 000000002CA4: 7E9A0280
	v_mov_b32_e32 v105, 0                                      // 000000002CA8: 7ED20280
	v_mov_b32_e32 v78, 0                                       // 000000002CAC: 7E9C0280
	v_mov_b32_e32 v106, 0                                      // 000000002CB0: 7ED40280
	v_mov_b32_e32 v79, 0                                       // 000000002CB4: 7E9E0280
	v_mov_b32_e32 v107, 0                                      // 000000002CB8: 7ED60280
	v_mov_b32_e32 v80, 0                                       // 000000002CBC: 7EA00280
	v_mov_b32_e32 v108, 0                                      // 000000002CC0: 7ED80280
	v_mov_b32_e32 v81, 0                                       // 000000002CC4: 7EA20280
	v_mov_b32_e32 v109, 0                                      // 000000002CC8: 7EDA0280
	v_mov_b32_e32 v82, 0                                       // 000000002CCC: 7EA40280
	v_mov_b32_e32 v110, 0                                      // 000000002CD0: 7EDC0280
	v_mov_b32_e32 v83, 0                                       // 000000002CD4: 7EA60280
	v_mov_b32_e32 v111, 0                                      // 000000002CD8: 7EDE0280
	v_mov_b32_e32 v84, 0                                       // 000000002CDC: 7EA80280
	v_mov_b32_e32 v112, 0                                      // 000000002CE0: 7EE00280
	v_mov_b32_e32 v85, 0                                       // 000000002CE4: 7EAA0280
	v_mov_b32_e32 v113, 0                                      // 000000002CE8: 7EE20280
	v_mov_b32_e32 v86, 0                                       // 000000002CEC: 7EAC0280
	v_mov_b32_e32 v114, 0                                      // 000000002CF0: 7EE40280
	v_mov_b32_e32 v87, 0                                       // 000000002CF4: 7EAE0280
	v_mov_b32_e32 v115, 0                                      // 000000002CF8: 7EE60280
	v_mov_b32_e32 v88, 0                                       // 000000002CFC: 7EB00280
	v_mov_b32_e32 v116, 0                                      // 000000002D00: 7EE80280
	v_mov_b32_e32 v89, 0                                       // 000000002D04: 7EB20280
	v_mov_b32_e32 v117, 0                                      // 000000002D08: 7EEA0280
	v_mov_b32_e32 v90, 0                                       // 000000002D0C: 7EB40280
	v_mov_b32_e32 v118, 0                                      // 000000002D10: 7EEC0280
	v_mov_b32_e32 v91, 0                                       // 000000002D14: 7EB60280
	v_mov_b32_e32 v119, 0                                      // 000000002D18: 7EEE0280
	v_mov_b32_e32 v92, 0                                       // 000000002D1C: 7EB80280
	v_mov_b32_e32 v120, 0                                      // 000000002D20: 7EF00280
	v_mov_b32_e32 v93, 0                                       // 000000002D24: 7EBA0280
	v_mov_b32_e32 v121, 0                                      // 000000002D28: 7EF20280
	v_mov_b32_e32 v94, 0                                       // 000000002D2C: 7EBC0280
	v_mov_b32_e32 v122, 0                                      // 000000002D30: 7EF40280
	v_mov_b32_e32 v95, 0                                       // 000000002D34: 7EBE0280
	v_mov_b32_e32 v123, 0                                      // 000000002D38: 7EF60280
	v_mov_b32_e32 v96, 0                                       // 000000002D3C: 7EC00280
	v_mov_b32_e32 v124, 0                                      // 000000002D40: 7EF80280
	v_mov_b32_e32 v97, 0                                       // 000000002D44: 7EC20280
	v_mov_b32_e32 v125, 0                                      // 000000002D48: 7EFA0280
	v_mov_b32_e32 v98, 0                                       // 000000002D4C: 7EC40280
	v_mov_b32_e32 v126, 0                                      // 000000002D50: 7EFC0280
	v_mov_b32_e32 v99, 0                                       // 000000002D54: 7EC60280
	v_mov_b32_e32 v127, 0                                      // 000000002D58: 7EFE0280
	v_mov_b32_e32 v100, 0                                      // 000000002D5C: 7EC80280
	v_mov_b32_e32 v128, 0                                      // 000000002D60: 7F000280
	v_mov_b32_e32 v101, 0                                      // 000000002D64: 7ECA0280
	v_mov_b32_e32 v129, 0                                      // 000000002D68: 7F020280
	v_mov_b32_e32 v102, 0                                      // 000000002D6C: 7ECC0280
	v_mov_b32_e32 v130, 0                                      // 000000002D70: 7F040280
	v_mov_b32_e32 v103, 0                                      // 000000002D74: 7ECE0280
	v_mov_b32_e32 v131, 0                                      // 000000002D78: 7F060280
	s_mul_i32 s60, s2, 0x80                                    // 000000002D7C: 923CFF02 00000080
	s_cmp_eq_u32 s88, 0                                        // 000000002D84: BF068058
	s_cselect_b32 s61, 1, 2                                    // 000000002D88: 853D8281
	s_mul_i32 s60, s60, s61                                    // 000000002D8C: 923C3D3C
	s_mov_b32 s90, s8                                          // 000000002D90: BEDA0008
	s_mov_b32 s91, s9                                          // 000000002D94: BEDB0009
	s_add_u32 s8, s60, s8                                      // 000000002D98: 8008083C
	s_addc_u32 s9, 0, s9                                       // 000000002D9C: 82090980
	v_lshrrev_b32_e32 v4, 4, v0                                // 000000002DA0: 20080084
	v_mul_lo_u32 v20, 34, v4                                   // 000000002DA4: D2850014 000208A2
	v_and_b32_e32 v4, 15, v0                                   // 000000002DAC: 2608008F
	v_mul_lo_u32 v5, 2, v4                                     // 000000002DB0: D2850005 00020882
	v_add_u32_e32 v20, v5, v20                                 // 000000002DB8: 68282905
	s_mul_i32 s60, s7, 0x88                                    // 000000002DBC: 923CFF07 00000088
	v_add_u32_e32 v20, s60, v20                                // 000000002DC4: 6828283C
	v_lshlrev_b32_e32 v20, 2, v20                              // 000000002DC8: 24282882
	v_and_b32_e32 v4, 31, v0                                   // 000000002DCC: 2608009F
	v_lshrrev_b32_e32 v4, 1, v4                                // 000000002DD0: 20080881
	v_mul_lo_u32 v21, 34, v4                                   // 000000002DD4: D2850015 000208A2
	v_lshrrev_b32_e32 v4, 5, v0                                // 000000002DDC: 20080085
	v_mul_lo_u32 v4, 8, v4                                     // 000000002DE0: D2850004 00020888
	v_add_u32_e32 v21, v21, v4                                 // 000000002DE8: 682A0915
	v_and_b32_e32 v5, 1, v0                                    // 000000002DEC: 260A0081
	v_add_u32_e32 v21, v5, v21                                 // 000000002DF0: 682A2B05
	s_mul_i32 s60, s7, 2                                       // 000000002DF4: 923C8207
	v_add_u32_e32 v21, s60, v21                                // 000000002DF8: 682A2A3C
	v_lshlrev_b32_e32 v21, 2, v21                              // 000000002DFC: 242A2A82
	s_mul_i32 s60, s7, 0xe20                                   // 000000002E00: 923CFF07 00000E20
	s_add_u32 s48, 0, s60                                      // 000000002E08: 80303C80
	s_add_u32 s49, 0x3880, s48                                 // 000000002E0C: 803130FF 00003880
	s_add_u32 s50, 0x3880, s49                                 // 000000002E14: 803231FF 00003880
	v_lshrrev_b32_e32 v4, 4, v0                                // 000000002E1C: 20080084
	v_lshlrev_b32_e32 v5, 2, v4                                // 000000002E20: 240A0882
	v_and_b32_e32 v4, 15, v0                                   // 000000002E24: 2608008F
	v_lshrrev_b32_e32 v6, 2, v4                                // 000000002E28: 200C0882
	v_lshlrev_b32_e32 v6, 5, v6                                // 000000002E2C: 240C0C85
	v_add_u32_e32 v5, v6, v5                                   // 000000002E30: 680A0B06
	v_and_b32_e32 v4, 3, v0                                    // 000000002E34: 26080083
	v_mul_u32_u24_e32 v6, 0x388, v4                            // 000000002E38: 100C08FF 00000388
	v_add_u32_e32 v5, v6, v5                                   // 000000002E40: 680A0B06
	v_lshlrev_b32_e32 v2, 2, v5                                // 000000002E44: 24040A82
	s_waitcnt lgkmcnt(0)                                       // 000000002E48: BF8CC07F
	s_mul_i32 s60, s2, 64                                      // 000000002E4C: 923CC002
	s_mul_i32 s60, s60, s69                                    // 000000002E50: 923C453C
	s_mul_i32 s61, s5, s72                                     // 000000002E54: 923D4805
	s_add_u32 s60, s61, s60                                    // 000000002E58: 803C3C3D
	s_add_u32 s24, s60, s24                                    // 000000002E5C: 8018183C
	s_addc_u32 s25, 0, s25                                     // 000000002E60: 82191980
	s_lshr_b32 s60, s64, s88                                   // 000000002E64: 8F3C5840
	s_mul_i32 s60, s4, s60                                     // 000000002E68: 923C3C04
	s_lshr_b32 s60, s60, 7                                     // 000000002E6C: 8F3C873C
	s_mul_i32 s60, s60, 0x800                                  // 000000002E70: 923CFF3C 00000800
	s_add_u32 s24, s60, s24                                    // 000000002E78: 8018183C
	s_addc_u32 s25, 0, s25                                     // 000000002E7C: 82191980
	s_lshr_b32 s60, s69, s88                                   // 000000002E80: 8F3C5845
	s_mul_i32 s60, s4, s60                                     // 000000002E84: 923C3C04
	s_add_u32 s20, s60, s20                                    // 000000002E88: 8014143C
	s_addc_u32 s21, 0, s21                                     // 000000002E8C: 82151580
	s_mul_i32 s60, s7, 16                                      // 000000002E90: 923C9007
	s_mul_i32 s60, s60, s69                                    // 000000002E94: 923C453C
	v_lshlrev_b32_e32 v72, 4, v0                               // 000000002E98: 24900084
	v_add_u32_e32 v72, s60, v72                                // 000000002E9C: 6890903C
	s_mul_i32 s60, 64, s69                                     // 000000002EA0: 923C45C0
	s_mov_b32 s84, s24                                         // 000000002EA4: BED40018
	s_mov_b32 s85, s25                                         // 000000002EA8: BED50019
	s_mov_b32 s86, s26                                         // 000000002EAC: BED6001A
	s_mov_b32 s87, s27                                         // 000000002EB0: BED7001B
	s_mul_i32 s60, s69, s65                                    // 000000002EB4: 923C4145
	s_add_u32 s84, s60, s84                                    // 000000002EB8: 8054543C
	s_addc_u32 s85, 0, s85                                     // 000000002EBC: 82555580
	v_lshrrev_b32_e32 v4, 4, v0                                // 000000002EC0: 20080084
	v_lshlrev_b32_e32 v5, 2, v4                                // 000000002EC4: 240A0882
	v_and_b32_e32 v4, 15, v0                                   // 000000002EC8: 2608008F
	v_lshrrev_b32_e32 v6, 2, v4                                // 000000002ECC: 200C0882
	v_lshlrev_b32_e32 v6, 6, v6                                // 000000002ED0: 240C0C86
	v_add_u32_e32 v5, v6, v5                                   // 000000002ED4: 680A0B06
	v_and_b32_e32 v4, 3, v0                                    // 000000002ED8: 26080083
	v_add_u32_e32 v5, v4, v5                                   // 000000002EDC: 680A0B04
	v_lshlrev_b32_e32 v22, 2, v5                               // 000000002EE0: 242C0A82
	s_mul_i32 s60, s7, 16                                      // 000000002EE4: 923C9007
	s_mul_i32 s60, s60, 4                                      // 000000002EE8: 923C843C
	v_add_u32_e32 v22, s60, v22                                // 000000002EEC: 682C2C3C
	s_mul_i32 s60, s2, 64                                      // 000000002EF0: 923CC002
	s_mul_i32 s60, s60, 4                                      // 000000002EF4: 923C843C
	s_mul_i32 s61, s5, s74                                     // 000000002EF8: 923D4A05
	s_add_u32 s61, s61, s60                                    // 000000002EFC: 803D3C3D
	s_add_u32 s32, s61, s32                                    // 000000002F00: 8020203D
	s_addc_u32 s33, 0, s33                                     // 000000002F04: 82212180
	s_mov_b32 s57, 0x80                                        // 000000002F08: BEB900FF 00000080
	s_mov_b32 s58, 0x800                                       // 000000002F10: BEBA00FF 00000800
	s_mov_b32 s83, s58                                         // 000000002F18: BED3003A
	s_mov_b32 s52, 0x7060302                                   // 000000002F1C: BEB400FF 07060302
	s_mov_b32 s53, 0x400                                       // 000000002F24: BEB500FF 00000400
	s_mov_b32 s54, 0x40100                                     // 000000002F2C: BEB600FF 00040100
	s_mov_b32 s55, 0x4020100                                   // 000000002F34: BEB700FF 04020100
	s_mov_b32 s6, 0x3fb8aa3b                                   // 000000002F3C: BE8600FF 3FB8AA3B
	s_mov_b32 s78, 0xbd92220c                                  // 000000002F44: BECE00FF BD92220C
	s_mov_b32 s79, 0xbd92220c                                  // 000000002F4C: BECF00FF BD92220C
	s_mov_b32 m0, s48                                          // 000000002F54: BEFC0030
	v_mov_b32_e32 v1, 0xbfcc4231                               // 000000002F58: 7E0202FF BFCC4231
	v_mov_b32_e32 v17, 0xffff0000                              // 000000002F60: 7E2202FF FFFF0000
	v_mov_b32_e32 v18, 0x7fff0000                              // 000000002F68: 7E2402FF 7FFF0000
	v_mov_b32_e32 v19, 0x7fff                                  // 000000002F70: 7E2602FF 00007FFF
	s_waitcnt vmcnt(0) expcnt(0) lgkmcnt(0)                    // 000000002F78: BF8C0000
	v_lshrrev_b32_e32 v4, 5, v0                                // 000000002F7C: 20080085
	v_xor_b32_e32 v5, 1, v4                                    // 000000002F80: 2A0A0881
	v_readlane_b32 s82, v3, 0                                  // 000000002F84: D2890052 00010103
	s_and_b32 s82, s82, 0xffffff                               // 000000002F8C: 8652FF52 00FFFFFF
	v_mul_lo_u32 v6, v5, s82                                   // 000000002F94: D2850006 0000A505
	v_readlane_b32 s82, v3, 1                                  // 000000002F9C: D2890052 00010303
	s_and_b32 s82, s82, 0xffffff                               // 000000002FA4: 8652FF52 00FFFFFF
	v_mul_lo_u32 v7, v4, s82                                   // 000000002FAC: D2850007 0000A504
	v_add_u32_e32 v58, v6, v7                                  // 000000002FB4: 68740F06
	v_mul_lo_u32 v58, v58, s68                                 // 000000002FB8: D285003A 0000893A
	v_readlane_b32 s82, v3, 2                                  // 000000002FC0: D2890052 00010503
	s_and_b32 s82, s82, 0xffffff                               // 000000002FC8: 8652FF52 00FFFFFF
	v_mul_lo_u32 v6, v5, s82                                   // 000000002FD0: D2850006 0000A505
	v_readlane_b32 s82, v3, 3                                  // 000000002FD8: D2890052 00010703
	s_and_b32 s82, s82, 0xffffff                               // 000000002FE0: 8652FF52 00FFFFFF
	v_mul_lo_u32 v7, v4, s82                                   // 000000002FE8: D2850007 0000A504
	v_add_u32_e32 v59, v6, v7                                  // 000000002FF0: 68760F06
	v_mul_lo_u32 v59, v59, s68                                 // 000000002FF4: D285003B 0000893B
	v_readlane_b32 s82, v3, 4                                  // 000000002FFC: D2890052 00010903
	s_and_b32 s82, s82, 0xffffff                               // 000000003004: 8652FF52 00FFFFFF
	v_mul_lo_u32 v6, v5, s82                                   // 00000000300C: D2850006 0000A505
	v_readlane_b32 s82, v3, 5                                  // 000000003014: D2890052 00010B03
	s_and_b32 s82, s82, 0xffffff                               // 00000000301C: 8652FF52 00FFFFFF
	v_mul_lo_u32 v7, v4, s82                                   // 000000003024: D2850007 0000A504
	v_add_u32_e32 v60, v6, v7                                  // 00000000302C: 68780F06
	v_mul_lo_u32 v60, v60, s68                                 // 000000003030: D285003C 0000893C
	v_readlane_b32 s82, v3, 6                                  // 000000003038: D2890052 00010D03
	s_and_b32 s82, s82, 0xffffff                               // 000000003040: 8652FF52 00FFFFFF
	v_mul_lo_u32 v6, v5, s82                                   // 000000003048: D2850006 0000A505
	v_readlane_b32 s82, v3, 7                                  // 000000003050: D2890052 00010F03
	s_and_b32 s82, s82, 0xffffff                               // 000000003058: 8652FF52 00FFFFFF
	v_mul_lo_u32 v7, v4, s82                                   // 000000003060: D2850007 0000A504
	v_add_u32_e32 v61, v6, v7                                  // 000000003068: 687A0F06
	v_mul_lo_u32 v61, v61, s68                                 // 00000000306C: D285003D 0000893D
	v_readlane_b32 s82, v3, 8                                  // 000000003074: D2890052 00011103
	s_and_b32 s82, s82, 0xffffff                               // 00000000307C: 8652FF52 00FFFFFF
	v_mul_lo_u32 v6, v5, s82                                   // 000000003084: D2850006 0000A505
	v_readlane_b32 s82, v3, 9                                  // 00000000308C: D2890052 00011303
	s_and_b32 s82, s82, 0xffffff                               // 000000003094: 8652FF52 00FFFFFF
	v_mul_lo_u32 v7, v4, s82                                   // 00000000309C: D2850007 0000A504
	v_add_u32_e32 v62, v6, v7                                  // 0000000030A4: 687C0F06
	v_mul_lo_u32 v62, v62, s68                                 // 0000000030A8: D285003E 0000893E
	v_readlane_b32 s82, v3, 10                                 // 0000000030B0: D2890052 00011503
	s_and_b32 s82, s82, 0xffffff                               // 0000000030B8: 8652FF52 00FFFFFF
	v_mul_lo_u32 v6, v5, s82                                   // 0000000030C0: D2850006 0000A505
	v_readlane_b32 s82, v3, 11                                 // 0000000030C8: D2890052 00011703
	s_and_b32 s82, s82, 0xffffff                               // 0000000030D0: 8652FF52 00FFFFFF
	v_mul_lo_u32 v7, v4, s82                                   // 0000000030D8: D2850007 0000A504
	v_add_u32_e32 v63, v6, v7                                  // 0000000030E0: 687E0F06
	v_mul_lo_u32 v63, v63, s68                                 // 0000000030E4: D285003F 0000893F
	v_readlane_b32 s82, v3, 12                                 // 0000000030EC: D2890052 00011903
	s_and_b32 s82, s82, 0xffffff                               // 0000000030F4: 8652FF52 00FFFFFF
	v_mul_lo_u32 v6, v5, s82                                   // 0000000030FC: D2850006 0000A505
	v_readlane_b32 s82, v3, 13                                 // 000000003104: D2890052 00011B03
	s_and_b32 s82, s82, 0xffffff                               // 00000000310C: 8652FF52 00FFFFFF
	v_mul_lo_u32 v7, v4, s82                                   // 000000003114: D2850007 0000A504
	v_add_u32_e32 v64, v6, v7                                  // 00000000311C: 68800F06
	v_mul_lo_u32 v64, v64, s68                                 // 000000003120: D2850040 00008940
	v_readlane_b32 s82, v3, 14                                 // 000000003128: D2890052 00011D03
	s_and_b32 s82, s82, 0xffffff                               // 000000003130: 8652FF52 00FFFFFF
	v_mul_lo_u32 v6, v5, s82                                   // 000000003138: D2850006 0000A505
	v_readlane_b32 s82, v3, 15                                 // 000000003140: D2890052 00011F03
	s_and_b32 s82, s82, 0xffffff                               // 000000003148: 8652FF52 00FFFFFF
	v_mul_lo_u32 v7, v4, s82                                   // 000000003150: D2850007 0000A504
	v_add_u32_e32 v65, v6, v7                                  // 000000003158: 68820F06
	v_mul_lo_u32 v65, v65, s68                                 // 00000000315C: D2850041 00008941
	v_readlane_b32 s82, v3, 16                                 // 000000003164: D2890052 00012103
	s_and_b32 s82, s82, 0xffffff                               // 00000000316C: 8652FF52 00FFFFFF
	v_mul_lo_u32 v6, v5, s82                                   // 000000003174: D2850006 0000A505
	v_readlane_b32 s82, v3, 17                                 // 00000000317C: D2890052 00012303
	s_and_b32 s82, s82, 0xffffff                               // 000000003184: 8652FF52 00FFFFFF
	v_mul_lo_u32 v7, v4, s82                                   // 00000000318C: D2850007 0000A504
	v_add_u32_e32 v66, v6, v7                                  // 000000003194: 68840F06
	v_mul_lo_u32 v66, v66, s68                                 // 000000003198: D2850042 00008942
	v_readlane_b32 s82, v3, 18                                 // 0000000031A0: D2890052 00012503
	s_and_b32 s82, s82, 0xffffff                               // 0000000031A8: 8652FF52 00FFFFFF
	v_mul_lo_u32 v6, v5, s82                                   // 0000000031B0: D2850006 0000A505
	v_readlane_b32 s82, v3, 19                                 // 0000000031B8: D2890052 00012703
	s_and_b32 s82, s82, 0xffffff                               // 0000000031C0: 8652FF52 00FFFFFF
	v_mul_lo_u32 v7, v4, s82                                   // 0000000031C8: D2850007 0000A504
	v_add_u32_e32 v67, v6, v7                                  // 0000000031D0: 68860F06
	v_mul_lo_u32 v67, v67, s68                                 // 0000000031D4: D2850043 00008943
	v_readlane_b32 s82, v3, 20                                 // 0000000031DC: D2890052 00012903
	s_and_b32 s82, s82, 0xffffff                               // 0000000031E4: 8652FF52 00FFFFFF
	v_mul_lo_u32 v6, v5, s82                                   // 0000000031EC: D2850006 0000A505
	v_readlane_b32 s82, v3, 21                                 // 0000000031F4: D2890052 00012B03
	s_and_b32 s82, s82, 0xffffff                               // 0000000031FC: 8652FF52 00FFFFFF
	v_mul_lo_u32 v7, v4, s82                                   // 000000003204: D2850007 0000A504
	v_add_u32_e32 v68, v6, v7                                  // 00000000320C: 68880F06
	v_mul_lo_u32 v68, v68, s68                                 // 000000003210: D2850044 00008944
	v_readlane_b32 s82, v3, 22                                 // 000000003218: D2890052 00012D03
	s_and_b32 s82, s82, 0xffffff                               // 000000003220: 8652FF52 00FFFFFF
	v_mul_lo_u32 v6, v5, s82                                   // 000000003228: D2850006 0000A505
	v_readlane_b32 s82, v3, 23                                 // 000000003230: D2890052 00012F03
	s_and_b32 s82, s82, 0xffffff                               // 000000003238: 8652FF52 00FFFFFF
	v_mul_lo_u32 v7, v4, s82                                   // 000000003240: D2850007 0000A504
	v_add_u32_e32 v69, v6, v7                                  // 000000003248: 688A0F06
	v_mul_lo_u32 v69, v69, s68                                 // 00000000324C: D2850045 00008945
	v_readlane_b32 s82, v3, 24                                 // 000000003254: D2890052 00013103
	s_and_b32 s82, s82, 0xffffff                               // 00000000325C: 8652FF52 00FFFFFF
	v_mul_lo_u32 v6, v5, s82                                   // 000000003264: D2850006 0000A505
	v_readlane_b32 s82, v3, 25                                 // 00000000326C: D2890052 00013303
	s_and_b32 s82, s82, 0xffffff                               // 000000003274: 8652FF52 00FFFFFF
	v_mul_lo_u32 v7, v4, s82                                   // 00000000327C: D2850007 0000A504
	v_add_u32_e32 v70, v6, v7                                  // 000000003284: 688C0F06
	v_mul_lo_u32 v70, v70, s68                                 // 000000003288: D2850046 00008946
	v_readlane_b32 s82, v3, 26                                 // 000000003290: D2890052 00013503
	s_and_b32 s82, s82, 0xffffff                               // 000000003298: 8652FF52 00FFFFFF
	v_mul_lo_u32 v6, v5, s82                                   // 0000000032A0: D2850006 0000A505
	v_readlane_b32 s82, v3, 27                                 // 0000000032A8: D2890052 00013703
	s_and_b32 s82, s82, 0xffffff                               // 0000000032B0: 8652FF52 00FFFFFF
	v_mul_lo_u32 v7, v4, s82                                   // 0000000032B8: D2850007 0000A504
	v_add_u32_e32 v71, v6, v7                                  // 0000000032C0: 688E0F06
	v_mul_lo_u32 v71, v71, s68                                 // 0000000032C4: D2850047 00008947
	v_and_b32_e32 v4, 31, v0                                   // 0000000032CC: 2608009F
	v_lshlrev_b32_e32 v4, 2, v4                                // 0000000032D0: 24080882
	v_add_u32_e32 v58, v58, v4                                 // 0000000032D4: 6874093A
	v_add_u32_e32 v59, v59, v4                                 // 0000000032D8: 6876093B
	v_add_u32_e32 v60, v60, v4                                 // 0000000032DC: 6878093C
	v_add_u32_e32 v61, v61, v4                                 // 0000000032E0: 687A093D
	v_add_u32_e32 v62, v62, v4                                 // 0000000032E4: 687C093E
	v_add_u32_e32 v63, v63, v4                                 // 0000000032E8: 687E093F
	v_add_u32_e32 v64, v64, v4                                 // 0000000032EC: 68800940
	v_add_u32_e32 v65, v65, v4                                 // 0000000032F0: 68820941
	v_add_u32_e32 v66, v66, v4                                 // 0000000032F4: 68840942
	v_add_u32_e32 v67, v67, v4                                 // 0000000032F8: 68860943
	v_add_u32_e32 v68, v68, v4                                 // 0000000032FC: 68880944
	v_add_u32_e32 v69, v69, v4                                 // 000000003300: 688A0945
	v_add_u32_e32 v70, v70, v4                                 // 000000003304: 688C0946
	v_add_u32_e32 v71, v71, v4                                 // 000000003308: 688E0947
	v_and_b32_e32 v30, 0xffffff, v30                           // 00000000330C: 263C3CFF 00FFFFFF
	v_lshlrev_b32_e32 v30, 2, v30                              // 000000003314: 243C3C82
	v_and_b32_e32 v31, 0xffffff, v31                           // 000000003318: 263E3EFF 00FFFFFF
	v_lshlrev_b32_e32 v31, 2, v31                              // 000000003320: 243E3E82
	v_and_b32_e32 v32, 0xffffff, v32                           // 000000003324: 264040FF 00FFFFFF
	v_lshlrev_b32_e32 v32, 2, v32                              // 00000000332C: 24404082
	v_and_b32_e32 v33, 0xffffff, v33                           // 000000003330: 264242FF 00FFFFFF
	v_lshlrev_b32_e32 v33, 2, v33                              // 000000003338: 24424282
	v_and_b32_e32 v34, 0xffffff, v34                           // 00000000333C: 264444FF 00FFFFFF
	v_lshlrev_b32_e32 v34, 2, v34                              // 000000003344: 24444482
	v_and_b32_e32 v35, 0xffffff, v35                           // 000000003348: 264646FF 00FFFFFF
	v_lshlrev_b32_e32 v35, 2, v35                              // 000000003350: 24464682
	v_and_b32_e32 v36, 0xffffff, v36                           // 000000003354: 264848FF 00FFFFFF
	v_lshlrev_b32_e32 v36, 2, v36                              // 00000000335C: 24484882
	s_lshl_b32 s3, s66, 2                                      // 000000003360: 8E038242
	buffer_load_dword v37, v30, s[28:31], 0 offen              // 000000003364: E0501000 8007251E
	buffer_load_dword v38, v31, s[28:31], 0 offen              // 00000000336C: E0501000 8007261F
	buffer_load_dword v39, v32, s[28:31], 0 offen              // 000000003374: E0501000 80072720
	buffer_load_dword v40, v33, s[28:31], 0 offen              // 00000000337C: E0501000 80072821
	buffer_load_dword v41, v34, s[28:31], 0 offen              // 000000003384: E0501000 80072922
	buffer_load_dword v42, v35, s[28:31], 0 offen              // 00000000338C: E0501000 80072A23
	buffer_load_dword v43, v36, s[28:31], 0 offen              // 000000003394: E0501000 80072B24
	buffer_load_dword v24, v22, s[32:35], 0 offen              // 00000000339C: E0501000 80081816
	s_mul_i32 s60, 4, s65                                      // 0000000033A4: 923C4184
	s_add_u32 s32, s60, s32                                    // 0000000033A8: 8020203C
	s_addc_u32 s33, 0, s33                                     // 0000000033AC: 82212180
	buffer_load_dword v27, v22, s[32:35], 0 offen              // 0000000033B0: E0501000 80081B16
	buffer_load_dword v58, s[20:23], 0 offen lds               // 0000000033B8: E0511000 8005003A
	s_add_u32 m0, 0x100, s48                                   // 0000000033C0: 807C30FF 00000100
	buffer_load_dword v59, s[20:23], 0 offen lds               // 0000000033C8: E0511000 8005003B
	s_add_u32 m0, 0x200, s48                                   // 0000000033D0: 807C30FF 00000200
	buffer_load_dword v60, s[20:23], 0 offen lds               // 0000000033D8: E0511000 8005003C
	s_add_u32 m0, 0x300, s48                                   // 0000000033E0: 807C30FF 00000300
	buffer_load_dword v61, s[20:23], 0 offen lds               // 0000000033E8: E0511000 8005003D
	s_add_u32 m0, 0x400, s48                                   // 0000000033F0: 807C30FF 00000400
	buffer_load_dword v62, s[20:23], 0 offen lds               // 0000000033F8: E0511000 8005003E
	s_add_u32 m0, 0x500, s48                                   // 000000003400: 807C30FF 00000500
	buffer_load_dword v63, s[20:23], 0 offen lds               // 000000003408: E0511000 8005003F
	s_add_u32 m0, 0x600, s48                                   // 000000003410: 807C30FF 00000600
	buffer_load_dword v64, s[20:23], 0 offen lds               // 000000003418: E0511000 80050040
	s_add_u32 m0, 0x700, s48                                   // 000000003420: 807C30FF 00000700
	buffer_load_dword v65, s[20:23], 0 offen lds               // 000000003428: E0511000 80050041
	;; [unrolled: 2-line block ×4, first 2 shown]
	s_add_u32 m0, 0xa00, s48                                   // 000000003450: 807C30FF 00000A00
	buffer_load_dword v68, s[20:23], 0 offen lds               // 000000003458: E0511000 80050044
	s_add_u32 m0, 0xb00, s48                                   // 000000003460: 807C30FF 00000B00
	buffer_load_dword v69, s[20:23], 0 offen lds               // 000000003468: E0511000 80050045
	s_add_u32 m0, 0xc00, s48                                   // 000000003470: 807C30FF 00000C00
	buffer_load_dword v70, s[20:23], 0 offen lds               // 000000003478: E0511000 80050046
	s_add_u32 m0, 0xd00, s48                                   // 000000003480: 807C30FF 00000D00
	buffer_load_dword v71, s[20:23], 0 offen lds               // 000000003488: E0511000 80050047
	s_add_u32 m0, 0, s49                                       // 000000003490: 807C3180
	s_add_u32 s20, s57, s20                                    // 000000003494: 80141439
	s_addc_u32 s21, 0, s21                                     // 000000003498: 82151580
	buffer_load_dwordx4 a[112:115], v72, s[24:27], 0 offen     // 00000000349C: E05C1000 80867048
	buffer_load_dwordx4 a[116:119], v72, s[24:27], 0 offen offset:1024// 0000000034A4: E05C1400 80867448
	s_add_u32 s24, s58, s24                                    // 0000000034AC: 8018183A
	s_addc_u32 s25, 0, s25                                     // 0000000034B0: 82191980
	buffer_load_dword v58, s[20:23], 0 offen lds               // 0000000034B4: E0511000 8005003A
	s_add_u32 m0, 0x100, s49                                   // 0000000034BC: 807C31FF 00000100
	buffer_load_dword v59, s[20:23], 0 offen lds               // 0000000034C4: E0511000 8005003B
	s_add_u32 m0, 0x200, s49                                   // 0000000034CC: 807C31FF 00000200
	buffer_load_dword v60, s[20:23], 0 offen lds               // 0000000034D4: E0511000 8005003C
	s_add_u32 m0, 0x300, s49                                   // 0000000034DC: 807C31FF 00000300
	buffer_load_dword v61, s[20:23], 0 offen lds               // 0000000034E4: E0511000 8005003D
	s_add_u32 m0, 0x400, s49                                   // 0000000034EC: 807C31FF 00000400
	buffer_load_dword v62, s[20:23], 0 offen lds               // 0000000034F4: E0511000 8005003E
	s_add_u32 m0, 0x500, s49                                   // 0000000034FC: 807C31FF 00000500
	buffer_load_dword v63, s[20:23], 0 offen lds               // 000000003504: E0511000 8005003F
	s_add_u32 m0, 0x600, s49                                   // 00000000350C: 807C31FF 00000600
	buffer_load_dword v64, s[20:23], 0 offen lds               // 000000003514: E0511000 80050040
	s_add_u32 m0, 0x700, s49                                   // 00000000351C: 807C31FF 00000700
	buffer_load_dword v65, s[20:23], 0 offen lds               // 000000003524: E0511000 80050041
	s_add_u32 m0, 0x800, s49                                   // 00000000352C: 807C31FF 00000800
	buffer_load_dword v66, s[20:23], 0 offen lds               // 000000003534: E0511000 80050042
	s_add_u32 m0, 0x900, s49                                   // 00000000353C: 807C31FF 00000900
	buffer_load_dword v67, s[20:23], 0 offen lds               // 000000003544: E0511000 80050043
	s_add_u32 m0, 0xa00, s49                                   // 00000000354C: 807C31FF 00000A00
	buffer_load_dword v68, s[20:23], 0 offen lds               // 000000003554: E0511000 80050044
	s_add_u32 m0, 0xb00, s49                                   // 00000000355C: 807C31FF 00000B00
	buffer_load_dword v69, s[20:23], 0 offen lds               // 000000003564: E0511000 80050045
	s_add_u32 m0, 0xc00, s49                                   // 00000000356C: 807C31FF 00000C00
	buffer_load_dword v70, s[20:23], 0 offen lds               // 000000003574: E0511000 80050046
	s_add_u32 m0, 0xd00, s49                                   // 00000000357C: 807C31FF 00000D00
	buffer_load_dword v71, s[20:23], 0 offen lds               // 000000003584: E0511000 80050047
	s_add_u32 m0, 0, s50                                       // 00000000358C: 807C3280
	s_add_u32 s20, s57, s20                                    // 000000003590: 80141439
	s_addc_u32 s21, 0, s21                                     // 000000003594: 82151580
	buffer_load_dwordx4 a[120:123], v72, s[84:87], 0 offen     // 000000003598: E05C1000 80957848
	buffer_load_dwordx4 a[124:127], v72, s[84:87], 0 offen offset:1024// 0000000035A0: E05C1400 80957C48
	s_add_u32 s84, s83, s84                                    // 0000000035A8: 80545453
	s_addc_u32 s85, 0, s85                                     // 0000000035AC: 82555580
	s_waitcnt vmcnt(18)                                        // 0000000035B0: BF8C4F72
	s_barrier                                                  // 0000000035B4: BF8A0000
	ds_read_b128 a[0:3], v2                                    // 0000000035B8: DBFE0000 00000002
	ds_read_b128 a[4:7], v2 offset:64                          // 0000000035C0: DBFE0040 04000002
	ds_read_b128 a[8:11], v2 offset:512                        // 0000000035C8: DBFE0200 08000002
	ds_read_b128 a[12:15], v2 offset:576                       // 0000000035D0: DBFE0240 0C000002
	ds_read_b128 a[16:19], v2 offset:1024                      // 0000000035D8: DBFE0400 10000002
	ds_read_b128 a[20:23], v2 offset:1088                      // 0000000035E0: DBFE0440 14000002
	ds_read_b128 a[24:27], v2 offset:1536                      // 0000000035E8: DBFE0600 18000002
	ds_read_b128 a[28:31], v2 offset:1600                      // 0000000035F0: DBFE0640 1C000002
	ds_read_b128 a[32:35], v2 offset:2048                      // 0000000035F8: DBFE0800 20000002
	ds_read_b128 a[36:39], v2 offset:2112                      // 000000003600: DBFE0840 24000002
	ds_read_b128 a[40:43], v2 offset:2560                      // 000000003608: DBFE0A00 28000002
	ds_read_b128 a[44:47], v2 offset:2624                      // 000000003610: DBFE0A40 2C000002
	ds_read_b128 a[48:51], v2 offset:3072                      // 000000003618: DBFE0C00 30000002
	ds_read_b128 a[52:55], v2 offset:3136                      // 000000003620: DBFE0C40 34000002
	s_cmp_lt_i32 s7, 2                                         // 000000003628: BF048207
	s_cbranch_scc0 label_1447                                  // 00000000362C: BF841138

0000000000003630 <label_030C>:
	s_waitcnt vmcnt(16) lgkmcnt(0)                             // 000000003630: BF8C4070
	v_mfma_f32_16x16x32_fp8_fp8 v[76:79], a[112:113], a[0:1], v[76:79]// 000000003634: D3F3004C 1D320170
	v_mfma_f32_16x16x32_fp8_fp8 v[76:79], a[114:115], a[2:3], v[76:79]// 00000000363C: D3F3004C 1D320572
	buffer_load_dwordx4 a[128:131], v72, s[24:27], 0 offen     // 000000003644: E05C1000 80868048
	v_mfma_f32_16x16x32_fp8_fp8 v[76:79], a[116:117], a[4:5], v[76:79]// 00000000364C: D3F3004C 1D320974
	v_mfma_f32_16x16x32_fp8_fp8 v[76:79], a[118:119], a[6:7], v[76:79]// 000000003654: D3F3004C 1D320D76
	v_mfma_f32_16x16x32_fp8_fp8 v[80:83], a[112:113], a[8:9], v[80:83]// 00000000365C: D3F30050 1D421170
	v_mfma_f32_16x16x32_fp8_fp8 v[80:83], a[114:115], a[10:11], v[80:83]// 000000003664: D3F30050 1D421572
	buffer_load_dwordx4 a[132:135], v72, s[24:27], 0 offen offset:1024// 00000000366C: E05C1400 80868448
	buffer_load_dword v58, s[20:23], 0 offen lds               // 000000003674: E0511000 8005003A
	s_add_u32 m0, 0x100, s50                                   // 00000000367C: 807C32FF 00000100
	v_mfma_f32_16x16x32_fp8_fp8 v[80:83], a[116:117], a[12:13], v[80:83]// 000000003684: D3F30050 1D421974
	v_mfma_f32_16x16x32_fp8_fp8 v[80:83], a[118:119], a[14:15], v[80:83]// 00000000368C: D3F30050 1D421D76
	buffer_load_dword v59, s[20:23], 0 offen lds               // 000000003694: E0511000 8005003B
	s_add_u32 m0, 0x200, s50                                   // 00000000369C: 807C32FF 00000200
	v_mfma_f32_16x16x32_fp8_fp8 v[84:87], a[112:113], a[16:17], v[84:87]// 0000000036A4: D3F30054 1D522170
	v_mfma_f32_16x16x32_fp8_fp8 v[84:87], a[114:115], a[18:19], v[84:87]// 0000000036AC: D3F30054 1D522572
	buffer_load_dword v60, s[20:23], 0 offen lds               // 0000000036B4: E0511000 8005003C
	s_add_u32 m0, 0x300, s50                                   // 0000000036BC: 807C32FF 00000300
	v_mfma_f32_16x16x32_fp8_fp8 v[84:87], a[116:117], a[20:21], v[84:87]// 0000000036C4: D3F30054 1D522974
	v_mfma_f32_16x16x32_fp8_fp8 v[84:87], a[118:119], a[22:23], v[84:87]// 0000000036CC: D3F30054 1D522D76
	buffer_load_dword v61, s[20:23], 0 offen lds               // 0000000036D4: E0511000 8005003D
	s_add_u32 m0, 0x400, s50                                   // 0000000036DC: 807C32FF 00000400
	v_mfma_f32_16x16x32_fp8_fp8 v[88:91], a[112:113], a[24:25], v[88:91]// 0000000036E4: D3F30058 1D623170
	v_mfma_f32_16x16x32_fp8_fp8 v[88:91], a[114:115], a[26:27], v[88:91]// 0000000036EC: D3F30058 1D623572
	buffer_load_dword v62, s[20:23], 0 offen lds               // 0000000036F4: E0511000 8005003E
	s_add_u32 m0, 0x500, s50                                   // 0000000036FC: 807C32FF 00000500
	v_mfma_f32_16x16x32_fp8_fp8 v[88:91], a[116:117], a[28:29], v[88:91]// 000000003704: D3F30058 1D623974
	v_mfma_f32_16x16x32_fp8_fp8 v[88:91], a[118:119], a[30:31], v[88:91]// 00000000370C: D3F30058 1D623D76
	buffer_load_dword v63, s[20:23], 0 offen lds               // 000000003714: E0511000 8005003F
	s_add_u32 m0, 0x600, s50                                   // 00000000371C: 807C32FF 00000600
	v_mfma_f32_16x16x32_fp8_fp8 v[92:95], a[112:113], a[32:33], v[92:95]// 000000003724: D3F3005C 1D724170
	v_mfma_f32_16x16x32_fp8_fp8 v[92:95], a[114:115], a[34:35], v[92:95]// 00000000372C: D3F3005C 1D724572
	buffer_load_dword v64, s[20:23], 0 offen lds               // 000000003734: E0511000 80050040
	s_add_u32 m0, 0x700, s50                                   // 00000000373C: 807C32FF 00000700
	v_mfma_f32_16x16x32_fp8_fp8 v[92:95], a[116:117], a[36:37], v[92:95]// 000000003744: D3F3005C 1D724974
	v_mfma_f32_16x16x32_fp8_fp8 v[92:95], a[118:119], a[38:39], v[92:95]// 00000000374C: D3F3005C 1D724D76
	buffer_load_dword v65, s[20:23], 0 offen lds               // 000000003754: E0511000 80050041
	s_add_u32 m0, 0x800, s50                                   // 00000000375C: 807C32FF 00000800
	v_mfma_f32_16x16x32_fp8_fp8 v[96:99], a[112:113], a[40:41], v[96:99]// 000000003764: D3F30060 1D825170
	v_mfma_f32_16x16x32_fp8_fp8 v[96:99], a[114:115], a[42:43], v[96:99]// 00000000376C: D3F30060 1D825572
	buffer_load_dword v66, s[20:23], 0 offen lds               // 000000003774: E0511000 80050042
	s_add_u32 m0, 0x900, s50                                   // 00000000377C: 807C32FF 00000900
	v_mfma_f32_16x16x32_fp8_fp8 v[96:99], a[116:117], a[44:45], v[96:99]// 000000003784: D3F30060 1D825974
	v_mfma_f32_16x16x32_fp8_fp8 v[96:99], a[118:119], a[46:47], v[96:99]// 00000000378C: D3F30060 1D825D76
	buffer_load_dword v67, s[20:23], 0 offen lds               // 000000003794: E0511000 80050043
	s_add_u32 m0, 0xa00, s50                                   // 00000000379C: 807C32FF 00000A00
	v_mfma_f32_16x16x32_fp8_fp8 v[100:103], a[112:113], a[48:49], v[100:103]// 0000000037A4: D3F30064 1D926170
	v_mfma_f32_16x16x32_fp8_fp8 v[100:103], a[114:115], a[50:51], v[100:103]// 0000000037AC: D3F30064 1D926572
	buffer_load_dword v68, s[20:23], 0 offen lds               // 0000000037B4: E0511000 80050044
	s_add_u32 m0, 0xb00, s50                                   // 0000000037BC: 807C32FF 00000B00
	v_mfma_f32_16x16x32_fp8_fp8 v[100:103], a[116:117], a[52:53], v[100:103]// 0000000037C4: D3F30064 1D926974
	v_mfma_f32_16x16x32_fp8_fp8 v[100:103], a[118:119], a[54:55], v[100:103]// 0000000037CC: D3F30064 1D926D76
	buffer_load_dword v69, s[20:23], 0 offen lds               // 0000000037D4: E0511000 80050045
	s_add_u32 m0, 0xc00, s50                                   // 0000000037DC: 807C32FF 00000C00
	buffer_load_dword v70, s[20:23], 0 offen lds               // 0000000037E4: E0511000 80050046
	s_add_u32 m0, 0xd00, s50                                   // 0000000037EC: 807C32FF 00000D00
	buffer_load_dword v71, s[20:23], 0 offen lds               // 0000000037F4: E0511000 80050047
	s_add_u32 m0, 0, s48                                       // 0000000037FC: 807C3080
	s_waitcnt vmcnt(16)                                        // 000000003800: BF8C4F70
	s_barrier                                                  // 000000003804: BF8A0000
	v_mfma_f32_16x16x32_fp8_fp8 v[104:107], a[120:121], a[0:1], v[104:107]// 000000003808: D3F30068 1DA20178
	v_mfma_f32_16x16x32_fp8_fp8 v[104:107], a[122:123], a[2:3], v[104:107]// 000000003810: D3F30068 1DA2057A
	buffer_load_dwordx4 a[112:115], v72, s[84:87], 0 offen     // 000000003818: E05C1000 80957048
	v_mfma_f32_16x16x32_fp8_fp8 v[104:107], a[124:125], a[4:5], v[104:107]// 000000003820: D3F30068 1DA2097C
	v_mfma_f32_16x16x32_fp8_fp8 v[104:107], a[126:127], a[6:7], v[104:107]// 000000003828: D3F30068 1DA20D7E
	ds_read_b128 a[56:59], v2 offset:14464                     // 000000003830: DBFE3880 38000002
	ds_read_b128 a[60:63], v2 offset:14528                     // 000000003838: DBFE38C0 3C000002
	v_mfma_f32_16x16x32_fp8_fp8 v[108:111], a[120:121], a[8:9], v[108:111]// 000000003840: D3F3006C 1DB21178
	v_mfma_f32_16x16x32_fp8_fp8 v[108:111], a[122:123], a[10:11], v[108:111]// 000000003848: D3F3006C 1DB2157A
	buffer_load_dwordx4 a[116:119], v72, s[84:87], 0 offen offset:1024// 000000003850: E05C1400 80957448
	v_mfma_f32_16x16x32_fp8_fp8 v[108:111], a[124:125], a[12:13], v[108:111]// 000000003858: D3F3006C 1DB2197C
	v_mfma_f32_16x16x32_fp8_fp8 v[108:111], a[126:127], a[14:15], v[108:111]// 000000003860: D3F3006C 1DB21D7E
	ds_read_b128 a[64:67], v2 offset:14976                     // 000000003868: DBFE3A80 40000002
	ds_read_b128 a[68:71], v2 offset:15040                     // 000000003870: DBFE3AC0 44000002
	v_mfma_f32_16x16x32_fp8_fp8 v[112:115], a[120:121], a[16:17], v[112:115]// 000000003878: D3F30070 1DC22178
	v_mfma_f32_16x16x32_fp8_fp8 v[112:115], a[122:123], a[18:19], v[112:115]// 000000003880: D3F30070 1DC2257A
	v_mfma_f32_16x16x32_fp8_fp8 v[112:115], a[124:125], a[20:21], v[112:115]// 000000003888: D3F30070 1DC2297C
	v_mfma_f32_16x16x32_fp8_fp8 v[112:115], a[126:127], a[22:23], v[112:115]// 000000003890: D3F30070 1DC22D7E
	ds_read_b128 a[72:75], v2 offset:15488                     // 000000003898: DBFE3C80 48000002
	ds_read_b128 a[76:79], v2 offset:15552                     // 0000000038A0: DBFE3CC0 4C000002
	v_mfma_f32_16x16x32_fp8_fp8 v[116:119], a[120:121], a[24:25], v[116:119]// 0000000038A8: D3F30074 1DD23178
	v_mfma_f32_16x16x32_fp8_fp8 v[116:119], a[122:123], a[26:27], v[116:119]// 0000000038B0: D3F30074 1DD2357A
	v_mfma_f32_16x16x32_fp8_fp8 v[116:119], a[124:125], a[28:29], v[116:119]// 0000000038B8: D3F30074 1DD2397C
	v_mfma_f32_16x16x32_fp8_fp8 v[116:119], a[126:127], a[30:31], v[116:119]// 0000000038C0: D3F30074 1DD23D7E
	ds_read_b128 a[80:83], v2 offset:16000                     // 0000000038C8: DBFE3E80 50000002
	ds_read_b128 a[84:87], v2 offset:16064                     // 0000000038D0: DBFE3EC0 54000002
	v_mfma_f32_16x16x32_fp8_fp8 v[120:123], a[120:121], a[32:33], v[120:123]// 0000000038D8: D3F30078 1DE24178
	v_mfma_f32_16x16x32_fp8_fp8 v[120:123], a[122:123], a[34:35], v[120:123]// 0000000038E0: D3F30078 1DE2457A
	v_mfma_f32_16x16x32_fp8_fp8 v[120:123], a[124:125], a[36:37], v[120:123]// 0000000038E8: D3F30078 1DE2497C
	v_mfma_f32_16x16x32_fp8_fp8 v[120:123], a[126:127], a[38:39], v[120:123]// 0000000038F0: D3F30078 1DE24D7E
	ds_read_b128 a[88:91], v2 offset:16512                     // 0000000038F8: DBFE4080 58000002
	ds_read_b128 a[92:95], v2 offset:16576                     // 000000003900: DBFE40C0 5C000002
	v_mfma_f32_16x16x32_fp8_fp8 v[124:127], a[120:121], a[40:41], v[124:127]// 000000003908: D3F3007C 1DF25178
	s_add_u32 s60, 0x180, s80                                  // 000000003910: 803C50FF 00000180
	s_cmp_lt_u32 s60, s81                                      // 000000003918: BF0A513C
	s_cselect_b32 s57, s57, 0                                  // 00000000391C: 85398039
	v_mfma_f32_16x16x32_fp8_fp8 v[124:127], a[122:123], a[42:43], v[124:127]// 000000003920: D3F3007C 1DF2557A
	s_add_u32 s60, 0x100, s80                                  // 000000003928: 803C50FF 00000100
	s_cmp_lt_u32 s60, s81                                      // 000000003930: BF0A513C
	s_cselect_b32 s58, s58, 0                                  // 000000003934: 853A803A
	v_mfma_f32_16x16x32_fp8_fp8 v[124:127], a[124:125], a[44:45], v[124:127]// 000000003938: D3F3007C 1DF2597C
	s_add_u32 s60, 0x100, s80                                  // 000000003940: 803C50FF 00000100
	s_cmp_lt_u32 s60, s81                                      // 000000003948: BF0A513C
	s_cselect_b32 s83, s83, 0                                  // 00000000394C: 85538053
	v_mfma_f32_16x16x32_fp8_fp8 v[124:127], a[126:127], a[46:47], v[124:127]// 000000003950: D3F3007C 1DF25D7E
	ds_read_b128 a[96:99], v2 offset:17024                     // 000000003958: DBFE4280 60000002
	ds_read_b128 a[100:103], v2 offset:17088                   // 000000003960: DBFE42C0 64000002
	s_add_u32 s24, s58, s24                                    // 000000003968: 8018183A
	s_addc_u32 s25, 0, s25                                     // 00000000396C: 82191980
	v_mfma_f32_16x16x32_fp8_fp8 v[128:131], a[120:121], a[48:49], v[128:131]// 000000003970: D3F30080 1E026178
	s_add_u32 s20, s57, s20                                    // 000000003978: 80141439
	s_addc_u32 s21, 0, s21                                     // 00000000397C: 82151580
	v_mfma_f32_16x16x32_fp8_fp8 v[128:131], a[122:123], a[50:51], v[128:131]// 000000003980: D3F30080 1E02657A
	s_add_u32 s84, s83, s84                                    // 000000003988: 80545453
	s_addc_u32 s85, 0, s85                                     // 00000000398C: 82555580
	v_mfma_f32_16x16x32_fp8_fp8 v[128:131], a[124:125], a[52:53], v[128:131]// 000000003990: D3F30080 1E02697C
	v_mfma_f32_16x16x32_fp8_fp8 v[128:131], a[126:127], a[54:55], v[128:131]// 000000003998: D3F30080 1E026D7E
	ds_read_b128 a[104:107], v2 offset:17536                   // 0000000039A0: DBFE4480 68000002
	ds_read_b128 a[108:111], v2 offset:17600                   // 0000000039A8: DBFE44C0 6C000002
	s_addk_i32 s80, 0x80                                       // 0000000039B0: B7500080
	s_cmp_lt_i32 s80, s81                                      // 0000000039B4: BF045150
	s_cbranch_scc0 label_085F                                  // 0000000039B8: BF840470
	s_waitcnt vmcnt(16) lgkmcnt(0)                             // 0000000039BC: BF8C4070
	v_mfma_f32_16x16x32_fp8_fp8 v[76:79], a[128:129], a[56:57], v[76:79]// 0000000039C0: D3F3004C 1D327180
	v_mfma_f32_16x16x32_fp8_fp8 v[76:79], a[130:131], a[58:59], v[76:79]// 0000000039C8: D3F3004C 1D327582
	buffer_load_dwordx4 a[120:123], v72, s[24:27], 0 offen     // 0000000039D0: E05C1000 80867848
	v_mfma_f32_16x16x32_fp8_fp8 v[76:79], a[132:133], a[60:61], v[76:79]// 0000000039D8: D3F3004C 1D327984
	v_mfma_f32_16x16x32_fp8_fp8 v[76:79], a[134:135], a[62:63], v[76:79]// 0000000039E0: D3F3004C 1D327D86
	v_mfma_f32_16x16x32_fp8_fp8 v[80:83], a[128:129], a[64:65], v[80:83]// 0000000039E8: D3F30050 1D428180
	v_mfma_f32_16x16x32_fp8_fp8 v[80:83], a[130:131], a[66:67], v[80:83]// 0000000039F0: D3F30050 1D428582
	buffer_load_dwordx4 a[124:127], v72, s[24:27], 0 offen offset:1024// 0000000039F8: E05C1400 80867C48
	buffer_load_dword v58, s[20:23], 0 offen lds               // 000000003A00: E0511000 8005003A
	s_add_u32 m0, 0x100, s48                                   // 000000003A08: 807C30FF 00000100
	v_mfma_f32_16x16x32_fp8_fp8 v[80:83], a[132:133], a[68:69], v[80:83]// 000000003A10: D3F30050 1D428984
	v_mfma_f32_16x16x32_fp8_fp8 v[80:83], a[134:135], a[70:71], v[80:83]// 000000003A18: D3F30050 1D428D86
	buffer_load_dword v59, s[20:23], 0 offen lds               // 000000003A20: E0511000 8005003B
	s_add_u32 m0, 0x200, s48                                   // 000000003A28: 807C30FF 00000200
	v_mfma_f32_16x16x32_fp8_fp8 v[84:87], a[128:129], a[72:73], v[84:87]// 000000003A30: D3F30054 1D529180
	v_mfma_f32_16x16x32_fp8_fp8 v[84:87], a[130:131], a[74:75], v[84:87]// 000000003A38: D3F30054 1D529582
	buffer_load_dword v60, s[20:23], 0 offen lds               // 000000003A40: E0511000 8005003C
	s_add_u32 m0, 0x300, s48                                   // 000000003A48: 807C30FF 00000300
	v_mfma_f32_16x16x32_fp8_fp8 v[84:87], a[132:133], a[76:77], v[84:87]// 000000003A50: D3F30054 1D529984
	v_mfma_f32_16x16x32_fp8_fp8 v[84:87], a[134:135], a[78:79], v[84:87]// 000000003A58: D3F30054 1D529D86
	buffer_load_dword v61, s[20:23], 0 offen lds               // 000000003A60: E0511000 8005003D
	s_add_u32 m0, 0x400, s48                                   // 000000003A68: 807C30FF 00000400
	v_mfma_f32_16x16x32_fp8_fp8 v[88:91], a[128:129], a[80:81], v[88:91]// 000000003A70: D3F30058 1D62A180
	v_mfma_f32_16x16x32_fp8_fp8 v[88:91], a[130:131], a[82:83], v[88:91]// 000000003A78: D3F30058 1D62A582
	buffer_load_dword v62, s[20:23], 0 offen lds               // 000000003A80: E0511000 8005003E
	s_add_u32 m0, 0x500, s48                                   // 000000003A88: 807C30FF 00000500
	v_mfma_f32_16x16x32_fp8_fp8 v[88:91], a[132:133], a[84:85], v[88:91]// 000000003A90: D3F30058 1D62A984
	v_mfma_f32_16x16x32_fp8_fp8 v[88:91], a[134:135], a[86:87], v[88:91]// 000000003A98: D3F30058 1D62AD86
	buffer_load_dword v63, s[20:23], 0 offen lds               // 000000003AA0: E0511000 8005003F
	s_add_u32 m0, 0x600, s48                                   // 000000003AA8: 807C30FF 00000600
	v_mfma_f32_16x16x32_fp8_fp8 v[92:95], a[128:129], a[88:89], v[92:95]// 000000003AB0: D3F3005C 1D72B180
	v_mfma_f32_16x16x32_fp8_fp8 v[92:95], a[130:131], a[90:91], v[92:95]// 000000003AB8: D3F3005C 1D72B582
	buffer_load_dword v64, s[20:23], 0 offen lds               // 000000003AC0: E0511000 80050040
	s_add_u32 m0, 0x700, s48                                   // 000000003AC8: 807C30FF 00000700
	v_mfma_f32_16x16x32_fp8_fp8 v[92:95], a[132:133], a[92:93], v[92:95]// 000000003AD0: D3F3005C 1D72B984
	v_mfma_f32_16x16x32_fp8_fp8 v[92:95], a[134:135], a[94:95], v[92:95]// 000000003AD8: D3F3005C 1D72BD86
	buffer_load_dword v65, s[20:23], 0 offen lds               // 000000003AE0: E0511000 80050041
	s_add_u32 m0, 0x800, s48                                   // 000000003AE8: 807C30FF 00000800
	v_mfma_f32_16x16x32_fp8_fp8 v[96:99], a[128:129], a[96:97], v[96:99]// 000000003AF0: D3F30060 1D82C180
	v_mfma_f32_16x16x32_fp8_fp8 v[96:99], a[130:131], a[98:99], v[96:99]// 000000003AF8: D3F30060 1D82C582
	buffer_load_dword v66, s[20:23], 0 offen lds               // 000000003B00: E0511000 80050042
	s_add_u32 m0, 0x900, s48                                   // 000000003B08: 807C30FF 00000900
	v_mfma_f32_16x16x32_fp8_fp8 v[96:99], a[132:133], a[100:101], v[96:99]// 000000003B10: D3F30060 1D82C984
	v_mfma_f32_16x16x32_fp8_fp8 v[96:99], a[134:135], a[102:103], v[96:99]// 000000003B18: D3F30060 1D82CD86
	buffer_load_dword v67, s[20:23], 0 offen lds               // 000000003B20: E0511000 80050043
	s_add_u32 m0, 0xa00, s48                                   // 000000003B28: 807C30FF 00000A00
	v_mfma_f32_16x16x32_fp8_fp8 v[100:103], a[128:129], a[104:105], v[100:103]// 000000003B30: D3F30064 1D92D180
	v_mfma_f32_16x16x32_fp8_fp8 v[100:103], a[130:131], a[106:107], v[100:103]// 000000003B38: D3F30064 1D92D582
	buffer_load_dword v68, s[20:23], 0 offen lds               // 000000003B40: E0511000 80050044
	s_add_u32 m0, 0xb00, s48                                   // 000000003B48: 807C30FF 00000B00
	v_mfma_f32_16x16x32_fp8_fp8 v[100:103], a[132:133], a[108:109], v[100:103]// 000000003B50: D3F30064 1D92D984
	v_mfma_f32_16x16x32_fp8_fp8 v[100:103], a[134:135], a[110:111], v[100:103]// 000000003B58: D3F30064 1D92DD86
	buffer_load_dword v69, s[20:23], 0 offen lds               // 000000003B60: E0511000 80050045
	s_add_u32 m0, 0xc00, s48                                   // 000000003B68: 807C30FF 00000C00
	buffer_load_dword v70, s[20:23], 0 offen lds               // 000000003B70: E0511000 80050046
	s_add_u32 m0, 0xd00, s48                                   // 000000003B78: 807C30FF 00000D00
	buffer_load_dword v71, s[20:23], 0 offen lds               // 000000003B80: E0511000 80050047
	s_add_u32 m0, 0, s49                                       // 000000003B88: 807C3180
	s_waitcnt vmcnt(16)                                        // 000000003B8C: BF8C4F70
	s_barrier                                                  // 000000003B90: BF8A0000
	v_mfma_f32_16x16x32_fp8_fp8 v[104:107], a[112:113], a[56:57], v[104:107]// 000000003B94: D3F30068 1DA27170
	v_mfma_f32_16x16x32_fp8_fp8 v[104:107], a[114:115], a[58:59], v[104:107]// 000000003B9C: D3F30068 1DA27572
	buffer_load_dwordx4 a[128:131], v72, s[84:87], 0 offen     // 000000003BA4: E05C1000 80958048
	v_mfma_f32_16x16x32_fp8_fp8 v[104:107], a[116:117], a[60:61], v[104:107]// 000000003BAC: D3F30068 1DA27974
	v_mfma_f32_16x16x32_fp8_fp8 v[104:107], a[118:119], a[62:63], v[104:107]// 000000003BB4: D3F30068 1DA27D76
	ds_read_b128 a[0:3], v2 offset:28928                       // 000000003BBC: DBFE7100 00000002
	ds_read_b128 a[4:7], v2 offset:28992                       // 000000003BC4: DBFE7140 04000002
	v_mfma_f32_16x16x32_fp8_fp8 v[108:111], a[112:113], a[64:65], v[108:111]// 000000003BCC: D3F3006C 1DB28170
	v_mfma_f32_16x16x32_fp8_fp8 v[108:111], a[114:115], a[66:67], v[108:111]// 000000003BD4: D3F3006C 1DB28572
	buffer_load_dwordx4 a[132:135], v72, s[84:87], 0 offen offset:1024// 000000003BDC: E05C1400 80958448
	v_mfma_f32_16x16x32_fp8_fp8 v[108:111], a[116:117], a[68:69], v[108:111]// 000000003BE4: D3F3006C 1DB28974
	v_mfma_f32_16x16x32_fp8_fp8 v[108:111], a[118:119], a[70:71], v[108:111]// 000000003BEC: D3F3006C 1DB28D76
	ds_read_b128 a[8:11], v2 offset:29440                      // 000000003BF4: DBFE7300 08000002
	ds_read_b128 a[12:15], v2 offset:29504                     // 000000003BFC: DBFE7340 0C000002
	v_mfma_f32_16x16x32_fp8_fp8 v[112:115], a[112:113], a[72:73], v[112:115]// 000000003C04: D3F30070 1DC29170
	v_mfma_f32_16x16x32_fp8_fp8 v[112:115], a[114:115], a[74:75], v[112:115]// 000000003C0C: D3F30070 1DC29572
	v_mfma_f32_16x16x32_fp8_fp8 v[112:115], a[116:117], a[76:77], v[112:115]// 000000003C14: D3F30070 1DC29974
	v_mfma_f32_16x16x32_fp8_fp8 v[112:115], a[118:119], a[78:79], v[112:115]// 000000003C1C: D3F30070 1DC29D76
	ds_read_b128 a[16:19], v2 offset:29952                     // 000000003C24: DBFE7500 10000002
	ds_read_b128 a[20:23], v2 offset:30016                     // 000000003C2C: DBFE7540 14000002
	v_mfma_f32_16x16x32_fp8_fp8 v[116:119], a[112:113], a[80:81], v[116:119]// 000000003C34: D3F30074 1DD2A170
	v_mfma_f32_16x16x32_fp8_fp8 v[116:119], a[114:115], a[82:83], v[116:119]// 000000003C3C: D3F30074 1DD2A572
	v_mfma_f32_16x16x32_fp8_fp8 v[116:119], a[116:117], a[84:85], v[116:119]// 000000003C44: D3F30074 1DD2A974
	v_mfma_f32_16x16x32_fp8_fp8 v[116:119], a[118:119], a[86:87], v[116:119]// 000000003C4C: D3F30074 1DD2AD76
	ds_read_b128 a[24:27], v2 offset:30464                     // 000000003C54: DBFE7700 18000002
	ds_read_b128 a[28:31], v2 offset:30528                     // 000000003C5C: DBFE7740 1C000002
	v_mfma_f32_16x16x32_fp8_fp8 v[120:123], a[112:113], a[88:89], v[120:123]// 000000003C64: D3F30078 1DE2B170
	v_mfma_f32_16x16x32_fp8_fp8 v[120:123], a[114:115], a[90:91], v[120:123]// 000000003C6C: D3F30078 1DE2B572
	v_mfma_f32_16x16x32_fp8_fp8 v[120:123], a[116:117], a[92:93], v[120:123]// 000000003C74: D3F30078 1DE2B974
	v_mfma_f32_16x16x32_fp8_fp8 v[120:123], a[118:119], a[94:95], v[120:123]// 000000003C7C: D3F30078 1DE2BD76
	ds_read_b128 a[32:35], v2 offset:30976                     // 000000003C84: DBFE7900 20000002
	ds_read_b128 a[36:39], v2 offset:31040                     // 000000003C8C: DBFE7940 24000002
	v_mfma_f32_16x16x32_fp8_fp8 v[124:127], a[112:113], a[96:97], v[124:127]// 000000003C94: D3F3007C 1DF2C170
	s_add_u32 s60, 0x180, s80                                  // 000000003C9C: 803C50FF 00000180
	s_cmp_lt_u32 s60, s81                                      // 000000003CA4: BF0A513C
	s_cselect_b32 s57, s57, 0                                  // 000000003CA8: 85398039
	v_mfma_f32_16x16x32_fp8_fp8 v[124:127], a[114:115], a[98:99], v[124:127]// 000000003CAC: D3F3007C 1DF2C572
	s_add_u32 s60, 0x100, s80                                  // 000000003CB4: 803C50FF 00000100
	s_cmp_lt_u32 s60, s81                                      // 000000003CBC: BF0A513C
	s_cselect_b32 s58, s58, 0                                  // 000000003CC0: 853A803A
	v_mfma_f32_16x16x32_fp8_fp8 v[124:127], a[116:117], a[100:101], v[124:127]// 000000003CC4: D3F3007C 1DF2C974
	s_add_u32 s60, 0x100, s80                                  // 000000003CCC: 803C50FF 00000100
	s_cmp_lt_u32 s60, s81                                      // 000000003CD4: BF0A513C
	s_cselect_b32 s83, s83, 0                                  // 000000003CD8: 85538053
	v_mfma_f32_16x16x32_fp8_fp8 v[124:127], a[118:119], a[102:103], v[124:127]// 000000003CDC: D3F3007C 1DF2CD76
	ds_read_b128 a[40:43], v2 offset:31488                     // 000000003CE4: DBFE7B00 28000002
	ds_read_b128 a[44:47], v2 offset:31552                     // 000000003CEC: DBFE7B40 2C000002
	s_add_u32 s24, s58, s24                                    // 000000003CF4: 8018183A
	s_addc_u32 s25, 0, s25                                     // 000000003CF8: 82191980
	v_mfma_f32_16x16x32_fp8_fp8 v[128:131], a[112:113], a[104:105], v[128:131]// 000000003CFC: D3F30080 1E02D170
	s_add_u32 s20, s57, s20                                    // 000000003D04: 80141439
	s_addc_u32 s21, 0, s21                                     // 000000003D08: 82151580
	v_mfma_f32_16x16x32_fp8_fp8 v[128:131], a[114:115], a[106:107], v[128:131]// 000000003D0C: D3F30080 1E02D572
	s_add_u32 s84, s83, s84                                    // 000000003D14: 80545453
	s_addc_u32 s85, 0, s85                                     // 000000003D18: 82555580
	v_mfma_f32_16x16x32_fp8_fp8 v[128:131], a[116:117], a[108:109], v[128:131]// 000000003D1C: D3F30080 1E02D974
	v_mfma_f32_16x16x32_fp8_fp8 v[128:131], a[118:119], a[110:111], v[128:131]// 000000003D24: D3F30080 1E02DD76
	ds_read_b128 a[48:51], v2 offset:32000                     // 000000003D2C: DBFE7D00 30000002
	ds_read_b128 a[52:55], v2 offset:32064                     // 000000003D34: DBFE7D40 34000002
	s_addk_i32 s80, 0x80                                       // 000000003D3C: B7500080
	s_cmp_lt_i32 s80, s81                                      // 000000003D40: BF045150
	s_cbranch_scc0 label_085F                                  // 000000003D44: BF84038D
	s_waitcnt vmcnt(16) lgkmcnt(0)                             // 000000003D48: BF8C4070
	v_mfma_f32_16x16x32_fp8_fp8 v[76:79], a[120:121], a[0:1], v[76:79]// 000000003D4C: D3F3004C 1D320178
	v_mfma_f32_16x16x32_fp8_fp8 v[76:79], a[122:123], a[2:3], v[76:79]// 000000003D54: D3F3004C 1D32057A
	buffer_load_dwordx4 a[112:115], v72, s[24:27], 0 offen     // 000000003D5C: E05C1000 80867048
	v_mfma_f32_16x16x32_fp8_fp8 v[76:79], a[124:125], a[4:5], v[76:79]// 000000003D64: D3F3004C 1D32097C
	v_mfma_f32_16x16x32_fp8_fp8 v[76:79], a[126:127], a[6:7], v[76:79]// 000000003D6C: D3F3004C 1D320D7E
	v_mfma_f32_16x16x32_fp8_fp8 v[80:83], a[120:121], a[8:9], v[80:83]// 000000003D74: D3F30050 1D421178
	v_mfma_f32_16x16x32_fp8_fp8 v[80:83], a[122:123], a[10:11], v[80:83]// 000000003D7C: D3F30050 1D42157A
	buffer_load_dwordx4 a[116:119], v72, s[24:27], 0 offen offset:1024// 000000003D84: E05C1400 80867448
	buffer_load_dword v58, s[20:23], 0 offen lds               // 000000003D8C: E0511000 8005003A
	s_add_u32 m0, 0x100, s49                                   // 000000003D94: 807C31FF 00000100
	v_mfma_f32_16x16x32_fp8_fp8 v[80:83], a[124:125], a[12:13], v[80:83]// 000000003D9C: D3F30050 1D42197C
	v_mfma_f32_16x16x32_fp8_fp8 v[80:83], a[126:127], a[14:15], v[80:83]// 000000003DA4: D3F30050 1D421D7E
	buffer_load_dword v59, s[20:23], 0 offen lds               // 000000003DAC: E0511000 8005003B
	s_add_u32 m0, 0x200, s49                                   // 000000003DB4: 807C31FF 00000200
	v_mfma_f32_16x16x32_fp8_fp8 v[84:87], a[120:121], a[16:17], v[84:87]// 000000003DBC: D3F30054 1D522178
	v_mfma_f32_16x16x32_fp8_fp8 v[84:87], a[122:123], a[18:19], v[84:87]// 000000003DC4: D3F30054 1D52257A
	buffer_load_dword v60, s[20:23], 0 offen lds               // 000000003DCC: E0511000 8005003C
	s_add_u32 m0, 0x300, s49                                   // 000000003DD4: 807C31FF 00000300
	v_mfma_f32_16x16x32_fp8_fp8 v[84:87], a[124:125], a[20:21], v[84:87]// 000000003DDC: D3F30054 1D52297C
	v_mfma_f32_16x16x32_fp8_fp8 v[84:87], a[126:127], a[22:23], v[84:87]// 000000003DE4: D3F30054 1D522D7E
	buffer_load_dword v61, s[20:23], 0 offen lds               // 000000003DEC: E0511000 8005003D
	s_add_u32 m0, 0x400, s49                                   // 000000003DF4: 807C31FF 00000400
	v_mfma_f32_16x16x32_fp8_fp8 v[88:91], a[120:121], a[24:25], v[88:91]// 000000003DFC: D3F30058 1D623178
	v_mfma_f32_16x16x32_fp8_fp8 v[88:91], a[122:123], a[26:27], v[88:91]// 000000003E04: D3F30058 1D62357A
	buffer_load_dword v62, s[20:23], 0 offen lds               // 000000003E0C: E0511000 8005003E
	s_add_u32 m0, 0x500, s49                                   // 000000003E14: 807C31FF 00000500
	v_mfma_f32_16x16x32_fp8_fp8 v[88:91], a[124:125], a[28:29], v[88:91]// 000000003E1C: D3F30058 1D62397C
	v_mfma_f32_16x16x32_fp8_fp8 v[88:91], a[126:127], a[30:31], v[88:91]// 000000003E24: D3F30058 1D623D7E
	buffer_load_dword v63, s[20:23], 0 offen lds               // 000000003E2C: E0511000 8005003F
	s_add_u32 m0, 0x600, s49                                   // 000000003E34: 807C31FF 00000600
	v_mfma_f32_16x16x32_fp8_fp8 v[92:95], a[120:121], a[32:33], v[92:95]// 000000003E3C: D3F3005C 1D724178
	v_mfma_f32_16x16x32_fp8_fp8 v[92:95], a[122:123], a[34:35], v[92:95]// 000000003E44: D3F3005C 1D72457A
	buffer_load_dword v64, s[20:23], 0 offen lds               // 000000003E4C: E0511000 80050040
	s_add_u32 m0, 0x700, s49                                   // 000000003E54: 807C31FF 00000700
	v_mfma_f32_16x16x32_fp8_fp8 v[92:95], a[124:125], a[36:37], v[92:95]// 000000003E5C: D3F3005C 1D72497C
	v_mfma_f32_16x16x32_fp8_fp8 v[92:95], a[126:127], a[38:39], v[92:95]// 000000003E64: D3F3005C 1D724D7E
	buffer_load_dword v65, s[20:23], 0 offen lds               // 000000003E6C: E0511000 80050041
	s_add_u32 m0, 0x800, s49                                   // 000000003E74: 807C31FF 00000800
	v_mfma_f32_16x16x32_fp8_fp8 v[96:99], a[120:121], a[40:41], v[96:99]// 000000003E7C: D3F30060 1D825178
	v_mfma_f32_16x16x32_fp8_fp8 v[96:99], a[122:123], a[42:43], v[96:99]// 000000003E84: D3F30060 1D82557A
	buffer_load_dword v66, s[20:23], 0 offen lds               // 000000003E8C: E0511000 80050042
	s_add_u32 m0, 0x900, s49                                   // 000000003E94: 807C31FF 00000900
	v_mfma_f32_16x16x32_fp8_fp8 v[96:99], a[124:125], a[44:45], v[96:99]// 000000003E9C: D3F30060 1D82597C
	v_mfma_f32_16x16x32_fp8_fp8 v[96:99], a[126:127], a[46:47], v[96:99]// 000000003EA4: D3F30060 1D825D7E
	buffer_load_dword v67, s[20:23], 0 offen lds               // 000000003EAC: E0511000 80050043
	s_add_u32 m0, 0xa00, s49                                   // 000000003EB4: 807C31FF 00000A00
	v_mfma_f32_16x16x32_fp8_fp8 v[100:103], a[120:121], a[48:49], v[100:103]// 000000003EBC: D3F30064 1D926178
	v_mfma_f32_16x16x32_fp8_fp8 v[100:103], a[122:123], a[50:51], v[100:103]// 000000003EC4: D3F30064 1D92657A
	buffer_load_dword v68, s[20:23], 0 offen lds               // 000000003ECC: E0511000 80050044
	s_add_u32 m0, 0xb00, s49                                   // 000000003ED4: 807C31FF 00000B00
	v_mfma_f32_16x16x32_fp8_fp8 v[100:103], a[124:125], a[52:53], v[100:103]// 000000003EDC: D3F30064 1D92697C
	v_mfma_f32_16x16x32_fp8_fp8 v[100:103], a[126:127], a[54:55], v[100:103]// 000000003EE4: D3F30064 1D926D7E
	buffer_load_dword v69, s[20:23], 0 offen lds               // 000000003EEC: E0511000 80050045
	s_add_u32 m0, 0xc00, s49                                   // 000000003EF4: 807C31FF 00000C00
	buffer_load_dword v70, s[20:23], 0 offen lds               // 000000003EFC: E0511000 80050046
	s_add_u32 m0, 0xd00, s49                                   // 000000003F04: 807C31FF 00000D00
	buffer_load_dword v71, s[20:23], 0 offen lds               // 000000003F0C: E0511000 80050047
	s_add_u32 m0, 0, s50                                       // 000000003F14: 807C3280
	s_waitcnt vmcnt(16)                                        // 000000003F18: BF8C4F70
	s_barrier                                                  // 000000003F1C: BF8A0000
	v_mfma_f32_16x16x32_fp8_fp8 v[104:107], a[128:129], a[0:1], v[104:107]// 000000003F20: D3F30068 1DA20180
	v_mfma_f32_16x16x32_fp8_fp8 v[104:107], a[130:131], a[2:3], v[104:107]// 000000003F28: D3F30068 1DA20582
	buffer_load_dwordx4 a[120:123], v72, s[84:87], 0 offen     // 000000003F30: E05C1000 80957848
	v_mfma_f32_16x16x32_fp8_fp8 v[104:107], a[132:133], a[4:5], v[104:107]// 000000003F38: D3F30068 1DA20984
	v_mfma_f32_16x16x32_fp8_fp8 v[104:107], a[134:135], a[6:7], v[104:107]// 000000003F40: D3F30068 1DA20D86
	ds_read_b128 a[56:59], v2                                  // 000000003F48: DBFE0000 38000002
	ds_read_b128 a[60:63], v2 offset:64                        // 000000003F50: DBFE0040 3C000002
	v_mfma_f32_16x16x32_fp8_fp8 v[108:111], a[128:129], a[8:9], v[108:111]// 000000003F58: D3F3006C 1DB21180
	v_mfma_f32_16x16x32_fp8_fp8 v[108:111], a[130:131], a[10:11], v[108:111]// 000000003F60: D3F3006C 1DB21582
	buffer_load_dwordx4 a[124:127], v72, s[84:87], 0 offen offset:1024// 000000003F68: E05C1400 80957C48
	v_mfma_f32_16x16x32_fp8_fp8 v[108:111], a[132:133], a[12:13], v[108:111]// 000000003F70: D3F3006C 1DB21984
	v_mfma_f32_16x16x32_fp8_fp8 v[108:111], a[134:135], a[14:15], v[108:111]// 000000003F78: D3F3006C 1DB21D86
	ds_read_b128 a[64:67], v2 offset:512                       // 000000003F80: DBFE0200 40000002
	ds_read_b128 a[68:71], v2 offset:576                       // 000000003F88: DBFE0240 44000002
	v_mfma_f32_16x16x32_fp8_fp8 v[112:115], a[128:129], a[16:17], v[112:115]// 000000003F90: D3F30070 1DC22180
	v_mfma_f32_16x16x32_fp8_fp8 v[112:115], a[130:131], a[18:19], v[112:115]// 000000003F98: D3F30070 1DC22582
	v_mfma_f32_16x16x32_fp8_fp8 v[112:115], a[132:133], a[20:21], v[112:115]// 000000003FA0: D3F30070 1DC22984
	v_mfma_f32_16x16x32_fp8_fp8 v[112:115], a[134:135], a[22:23], v[112:115]// 000000003FA8: D3F30070 1DC22D86
	ds_read_b128 a[72:75], v2 offset:1024                      // 000000003FB0: DBFE0400 48000002
	ds_read_b128 a[76:79], v2 offset:1088                      // 000000003FB8: DBFE0440 4C000002
	v_mfma_f32_16x16x32_fp8_fp8 v[116:119], a[128:129], a[24:25], v[116:119]// 000000003FC0: D3F30074 1DD23180
	v_mfma_f32_16x16x32_fp8_fp8 v[116:119], a[130:131], a[26:27], v[116:119]// 000000003FC8: D3F30074 1DD23582
	v_mfma_f32_16x16x32_fp8_fp8 v[116:119], a[132:133], a[28:29], v[116:119]// 000000003FD0: D3F30074 1DD23984
	v_mfma_f32_16x16x32_fp8_fp8 v[116:119], a[134:135], a[30:31], v[116:119]// 000000003FD8: D3F30074 1DD23D86
	ds_read_b128 a[80:83], v2 offset:1536                      // 000000003FE0: DBFE0600 50000002
	ds_read_b128 a[84:87], v2 offset:1600                      // 000000003FE8: DBFE0640 54000002
	v_mfma_f32_16x16x32_fp8_fp8 v[120:123], a[128:129], a[32:33], v[120:123]// 000000003FF0: D3F30078 1DE24180
	v_mfma_f32_16x16x32_fp8_fp8 v[120:123], a[130:131], a[34:35], v[120:123]// 000000003FF8: D3F30078 1DE24582
	v_mfma_f32_16x16x32_fp8_fp8 v[120:123], a[132:133], a[36:37], v[120:123]// 000000004000: D3F30078 1DE24984
	v_mfma_f32_16x16x32_fp8_fp8 v[120:123], a[134:135], a[38:39], v[120:123]// 000000004008: D3F30078 1DE24D86
	ds_read_b128 a[88:91], v2 offset:2048                      // 000000004010: DBFE0800 58000002
	ds_read_b128 a[92:95], v2 offset:2112                      // 000000004018: DBFE0840 5C000002
	v_mfma_f32_16x16x32_fp8_fp8 v[124:127], a[128:129], a[40:41], v[124:127]// 000000004020: D3F3007C 1DF25180
	s_add_u32 s60, 0x180, s80                                  // 000000004028: 803C50FF 00000180
	s_cmp_lt_u32 s60, s81                                      // 000000004030: BF0A513C
	s_cselect_b32 s57, s57, 0                                  // 000000004034: 85398039
	v_mfma_f32_16x16x32_fp8_fp8 v[124:127], a[130:131], a[42:43], v[124:127]// 000000004038: D3F3007C 1DF25582
	s_add_u32 s60, 0x100, s80                                  // 000000004040: 803C50FF 00000100
	s_cmp_lt_u32 s60, s81                                      // 000000004048: BF0A513C
	s_cselect_b32 s58, s58, 0                                  // 00000000404C: 853A803A
	v_mfma_f32_16x16x32_fp8_fp8 v[124:127], a[132:133], a[44:45], v[124:127]// 000000004050: D3F3007C 1DF25984
	s_add_u32 s60, 0x100, s80                                  // 000000004058: 803C50FF 00000100
	s_cmp_lt_u32 s60, s81                                      // 000000004060: BF0A513C
	s_cselect_b32 s83, s83, 0                                  // 000000004064: 85538053
	v_mfma_f32_16x16x32_fp8_fp8 v[124:127], a[134:135], a[46:47], v[124:127]// 000000004068: D3F3007C 1DF25D86
	ds_read_b128 a[96:99], v2 offset:2560                      // 000000004070: DBFE0A00 60000002
	ds_read_b128 a[100:103], v2 offset:2624                    // 000000004078: DBFE0A40 64000002
	s_add_u32 s24, s58, s24                                    // 000000004080: 8018183A
	s_addc_u32 s25, 0, s25                                     // 000000004084: 82191980
	v_mfma_f32_16x16x32_fp8_fp8 v[128:131], a[128:129], a[48:49], v[128:131]// 000000004088: D3F30080 1E026180
	s_add_u32 s20, s57, s20                                    // 000000004090: 80141439
	s_addc_u32 s21, 0, s21                                     // 000000004094: 82151580
	v_mfma_f32_16x16x32_fp8_fp8 v[128:131], a[130:131], a[50:51], v[128:131]// 000000004098: D3F30080 1E026582
	s_add_u32 s84, s83, s84                                    // 0000000040A0: 80545453
	s_addc_u32 s85, 0, s85                                     // 0000000040A4: 82555580
	v_mfma_f32_16x16x32_fp8_fp8 v[128:131], a[132:133], a[52:53], v[128:131]// 0000000040A8: D3F30080 1E026984
	v_mfma_f32_16x16x32_fp8_fp8 v[128:131], a[134:135], a[54:55], v[128:131]// 0000000040B0: D3F30080 1E026D86
	ds_read_b128 a[104:107], v2 offset:3072                    // 0000000040B8: DBFE0C00 68000002
	ds_read_b128 a[108:111], v2 offset:3136                    // 0000000040C0: DBFE0C40 6C000002
	s_addk_i32 s80, 0x80                                       // 0000000040C8: B7500080
	s_cmp_lt_i32 s80, s81                                      // 0000000040CC: BF045150
	s_cbranch_scc0 label_085F                                  // 0000000040D0: BF8402AA
	s_waitcnt vmcnt(16) lgkmcnt(0)                             // 0000000040D4: BF8C4070
	v_mfma_f32_16x16x32_fp8_fp8 v[76:79], a[112:113], a[56:57], v[76:79]// 0000000040D8: D3F3004C 1D327170
	v_mfma_f32_16x16x32_fp8_fp8 v[76:79], a[114:115], a[58:59], v[76:79]// 0000000040E0: D3F3004C 1D327572
	buffer_load_dwordx4 a[128:131], v72, s[24:27], 0 offen     // 0000000040E8: E05C1000 80868048
	v_mfma_f32_16x16x32_fp8_fp8 v[76:79], a[116:117], a[60:61], v[76:79]// 0000000040F0: D3F3004C 1D327974
	v_mfma_f32_16x16x32_fp8_fp8 v[76:79], a[118:119], a[62:63], v[76:79]// 0000000040F8: D3F3004C 1D327D76
	v_mfma_f32_16x16x32_fp8_fp8 v[80:83], a[112:113], a[64:65], v[80:83]// 000000004100: D3F30050 1D428170
	v_mfma_f32_16x16x32_fp8_fp8 v[80:83], a[114:115], a[66:67], v[80:83]// 000000004108: D3F30050 1D428572
	buffer_load_dwordx4 a[132:135], v72, s[24:27], 0 offen offset:1024// 000000004110: E05C1400 80868448
	buffer_load_dword v58, s[20:23], 0 offen lds               // 000000004118: E0511000 8005003A
	s_add_u32 m0, 0x100, s50                                   // 000000004120: 807C32FF 00000100
	v_mfma_f32_16x16x32_fp8_fp8 v[80:83], a[116:117], a[68:69], v[80:83]// 000000004128: D3F30050 1D428974
	v_mfma_f32_16x16x32_fp8_fp8 v[80:83], a[118:119], a[70:71], v[80:83]// 000000004130: D3F30050 1D428D76
	buffer_load_dword v59, s[20:23], 0 offen lds               // 000000004138: E0511000 8005003B
	s_add_u32 m0, 0x200, s50                                   // 000000004140: 807C32FF 00000200
	v_mfma_f32_16x16x32_fp8_fp8 v[84:87], a[112:113], a[72:73], v[84:87]// 000000004148: D3F30054 1D529170
	v_mfma_f32_16x16x32_fp8_fp8 v[84:87], a[114:115], a[74:75], v[84:87]// 000000004150: D3F30054 1D529572
	buffer_load_dword v60, s[20:23], 0 offen lds               // 000000004158: E0511000 8005003C
	s_add_u32 m0, 0x300, s50                                   // 000000004160: 807C32FF 00000300
	v_mfma_f32_16x16x32_fp8_fp8 v[84:87], a[116:117], a[76:77], v[84:87]// 000000004168: D3F30054 1D529974
	v_mfma_f32_16x16x32_fp8_fp8 v[84:87], a[118:119], a[78:79], v[84:87]// 000000004170: D3F30054 1D529D76
	buffer_load_dword v61, s[20:23], 0 offen lds               // 000000004178: E0511000 8005003D
	s_add_u32 m0, 0x400, s50                                   // 000000004180: 807C32FF 00000400
	v_mfma_f32_16x16x32_fp8_fp8 v[88:91], a[112:113], a[80:81], v[88:91]// 000000004188: D3F30058 1D62A170
	v_mfma_f32_16x16x32_fp8_fp8 v[88:91], a[114:115], a[82:83], v[88:91]// 000000004190: D3F30058 1D62A572
	buffer_load_dword v62, s[20:23], 0 offen lds               // 000000004198: E0511000 8005003E
	s_add_u32 m0, 0x500, s50                                   // 0000000041A0: 807C32FF 00000500
	v_mfma_f32_16x16x32_fp8_fp8 v[88:91], a[116:117], a[84:85], v[88:91]// 0000000041A8: D3F30058 1D62A974
	v_mfma_f32_16x16x32_fp8_fp8 v[88:91], a[118:119], a[86:87], v[88:91]// 0000000041B0: D3F30058 1D62AD76
	buffer_load_dword v63, s[20:23], 0 offen lds               // 0000000041B8: E0511000 8005003F
	s_add_u32 m0, 0x600, s50                                   // 0000000041C0: 807C32FF 00000600
	v_mfma_f32_16x16x32_fp8_fp8 v[92:95], a[112:113], a[88:89], v[92:95]// 0000000041C8: D3F3005C 1D72B170
	v_mfma_f32_16x16x32_fp8_fp8 v[92:95], a[114:115], a[90:91], v[92:95]// 0000000041D0: D3F3005C 1D72B572
	buffer_load_dword v64, s[20:23], 0 offen lds               // 0000000041D8: E0511000 80050040
	s_add_u32 m0, 0x700, s50                                   // 0000000041E0: 807C32FF 00000700
	v_mfma_f32_16x16x32_fp8_fp8 v[92:95], a[116:117], a[92:93], v[92:95]// 0000000041E8: D3F3005C 1D72B974
	v_mfma_f32_16x16x32_fp8_fp8 v[92:95], a[118:119], a[94:95], v[92:95]// 0000000041F0: D3F3005C 1D72BD76
	buffer_load_dword v65, s[20:23], 0 offen lds               // 0000000041F8: E0511000 80050041
	s_add_u32 m0, 0x800, s50                                   // 000000004200: 807C32FF 00000800
	v_mfma_f32_16x16x32_fp8_fp8 v[96:99], a[112:113], a[96:97], v[96:99]// 000000004208: D3F30060 1D82C170
	v_mfma_f32_16x16x32_fp8_fp8 v[96:99], a[114:115], a[98:99], v[96:99]// 000000004210: D3F30060 1D82C572
	buffer_load_dword v66, s[20:23], 0 offen lds               // 000000004218: E0511000 80050042
	s_add_u32 m0, 0x900, s50                                   // 000000004220: 807C32FF 00000900
	v_mfma_f32_16x16x32_fp8_fp8 v[96:99], a[116:117], a[100:101], v[96:99]// 000000004228: D3F30060 1D82C974
	v_mfma_f32_16x16x32_fp8_fp8 v[96:99], a[118:119], a[102:103], v[96:99]// 000000004230: D3F30060 1D82CD76
	buffer_load_dword v67, s[20:23], 0 offen lds               // 000000004238: E0511000 80050043
	s_add_u32 m0, 0xa00, s50                                   // 000000004240: 807C32FF 00000A00
	v_mfma_f32_16x16x32_fp8_fp8 v[100:103], a[112:113], a[104:105], v[100:103]// 000000004248: D3F30064 1D92D170
	v_mfma_f32_16x16x32_fp8_fp8 v[100:103], a[114:115], a[106:107], v[100:103]// 000000004250: D3F30064 1D92D572
	buffer_load_dword v68, s[20:23], 0 offen lds               // 000000004258: E0511000 80050044
	s_add_u32 m0, 0xb00, s50                                   // 000000004260: 807C32FF 00000B00
	v_mfma_f32_16x16x32_fp8_fp8 v[100:103], a[116:117], a[108:109], v[100:103]// 000000004268: D3F30064 1D92D974
	v_mfma_f32_16x16x32_fp8_fp8 v[100:103], a[118:119], a[110:111], v[100:103]// 000000004270: D3F30064 1D92DD76
	buffer_load_dword v69, s[20:23], 0 offen lds               // 000000004278: E0511000 80050045
	s_add_u32 m0, 0xc00, s50                                   // 000000004280: 807C32FF 00000C00
	buffer_load_dword v70, s[20:23], 0 offen lds               // 000000004288: E0511000 80050046
	s_add_u32 m0, 0xd00, s50                                   // 000000004290: 807C32FF 00000D00
	buffer_load_dword v71, s[20:23], 0 offen lds               // 000000004298: E0511000 80050047
	s_add_u32 m0, 0, s48                                       // 0000000042A0: 807C3080
	s_waitcnt vmcnt(16)                                        // 0000000042A4: BF8C4F70
	s_barrier                                                  // 0000000042A8: BF8A0000
	v_mfma_f32_16x16x32_fp8_fp8 v[104:107], a[120:121], a[56:57], v[104:107]// 0000000042AC: D3F30068 1DA27178
	v_mfma_f32_16x16x32_fp8_fp8 v[104:107], a[122:123], a[58:59], v[104:107]// 0000000042B4: D3F30068 1DA2757A
	buffer_load_dwordx4 a[112:115], v72, s[84:87], 0 offen     // 0000000042BC: E05C1000 80957048
	v_mfma_f32_16x16x32_fp8_fp8 v[104:107], a[124:125], a[60:61], v[104:107]// 0000000042C4: D3F30068 1DA2797C
	v_mfma_f32_16x16x32_fp8_fp8 v[104:107], a[126:127], a[62:63], v[104:107]// 0000000042CC: D3F30068 1DA27D7E
	ds_read_b128 a[0:3], v2 offset:14464                       // 0000000042D4: DBFE3880 00000002
	ds_read_b128 a[4:7], v2 offset:14528                       // 0000000042DC: DBFE38C0 04000002
	v_mfma_f32_16x16x32_fp8_fp8 v[108:111], a[120:121], a[64:65], v[108:111]// 0000000042E4: D3F3006C 1DB28178
	v_mfma_f32_16x16x32_fp8_fp8 v[108:111], a[122:123], a[66:67], v[108:111]// 0000000042EC: D3F3006C 1DB2857A
	buffer_load_dwordx4 a[116:119], v72, s[84:87], 0 offen offset:1024// 0000000042F4: E05C1400 80957448
	v_mfma_f32_16x16x32_fp8_fp8 v[108:111], a[124:125], a[68:69], v[108:111]// 0000000042FC: D3F3006C 1DB2897C
	v_mfma_f32_16x16x32_fp8_fp8 v[108:111], a[126:127], a[70:71], v[108:111]// 000000004304: D3F3006C 1DB28D7E
	ds_read_b128 a[8:11], v2 offset:14976                      // 00000000430C: DBFE3A80 08000002
	ds_read_b128 a[12:15], v2 offset:15040                     // 000000004314: DBFE3AC0 0C000002
	v_mfma_f32_16x16x32_fp8_fp8 v[112:115], a[120:121], a[72:73], v[112:115]// 00000000431C: D3F30070 1DC29178
	v_mfma_f32_16x16x32_fp8_fp8 v[112:115], a[122:123], a[74:75], v[112:115]// 000000004324: D3F30070 1DC2957A
	v_mfma_f32_16x16x32_fp8_fp8 v[112:115], a[124:125], a[76:77], v[112:115]// 00000000432C: D3F30070 1DC2997C
	v_mfma_f32_16x16x32_fp8_fp8 v[112:115], a[126:127], a[78:79], v[112:115]// 000000004334: D3F30070 1DC29D7E
	ds_read_b128 a[16:19], v2 offset:15488                     // 00000000433C: DBFE3C80 10000002
	ds_read_b128 a[20:23], v2 offset:15552                     // 000000004344: DBFE3CC0 14000002
	v_mfma_f32_16x16x32_fp8_fp8 v[116:119], a[120:121], a[80:81], v[116:119]// 00000000434C: D3F30074 1DD2A178
	v_mfma_f32_16x16x32_fp8_fp8 v[116:119], a[122:123], a[82:83], v[116:119]// 000000004354: D3F30074 1DD2A57A
	v_mfma_f32_16x16x32_fp8_fp8 v[116:119], a[124:125], a[84:85], v[116:119]// 00000000435C: D3F30074 1DD2A97C
	v_mfma_f32_16x16x32_fp8_fp8 v[116:119], a[126:127], a[86:87], v[116:119]// 000000004364: D3F30074 1DD2AD7E
	ds_read_b128 a[24:27], v2 offset:16000                     // 00000000436C: DBFE3E80 18000002
	ds_read_b128 a[28:31], v2 offset:16064                     // 000000004374: DBFE3EC0 1C000002
	v_mfma_f32_16x16x32_fp8_fp8 v[120:123], a[120:121], a[88:89], v[120:123]// 00000000437C: D3F30078 1DE2B178
	v_mfma_f32_16x16x32_fp8_fp8 v[120:123], a[122:123], a[90:91], v[120:123]// 000000004384: D3F30078 1DE2B57A
	v_mfma_f32_16x16x32_fp8_fp8 v[120:123], a[124:125], a[92:93], v[120:123]// 00000000438C: D3F30078 1DE2B97C
	v_mfma_f32_16x16x32_fp8_fp8 v[120:123], a[126:127], a[94:95], v[120:123]// 000000004394: D3F30078 1DE2BD7E
	ds_read_b128 a[32:35], v2 offset:16512                     // 00000000439C: DBFE4080 20000002
	ds_read_b128 a[36:39], v2 offset:16576                     // 0000000043A4: DBFE40C0 24000002
	v_mfma_f32_16x16x32_fp8_fp8 v[124:127], a[120:121], a[96:97], v[124:127]// 0000000043AC: D3F3007C 1DF2C178
	s_add_u32 s60, 0x180, s80                                  // 0000000043B4: 803C50FF 00000180
	s_cmp_lt_u32 s60, s81                                      // 0000000043BC: BF0A513C
	s_cselect_b32 s57, s57, 0                                  // 0000000043C0: 85398039
	v_mfma_f32_16x16x32_fp8_fp8 v[124:127], a[122:123], a[98:99], v[124:127]// 0000000043C4: D3F3007C 1DF2C57A
	s_add_u32 s60, 0x100, s80                                  // 0000000043CC: 803C50FF 00000100
	s_cmp_lt_u32 s60, s81                                      // 0000000043D4: BF0A513C
	s_cselect_b32 s58, s58, 0                                  // 0000000043D8: 853A803A
	v_mfma_f32_16x16x32_fp8_fp8 v[124:127], a[124:125], a[100:101], v[124:127]// 0000000043DC: D3F3007C 1DF2C97C
	s_add_u32 s60, 0x100, s80                                  // 0000000043E4: 803C50FF 00000100
	s_cmp_lt_u32 s60, s81                                      // 0000000043EC: BF0A513C
	s_cselect_b32 s83, s83, 0                                  // 0000000043F0: 85538053
	v_mfma_f32_16x16x32_fp8_fp8 v[124:127], a[126:127], a[102:103], v[124:127]// 0000000043F4: D3F3007C 1DF2CD7E
	ds_read_b128 a[40:43], v2 offset:17024                     // 0000000043FC: DBFE4280 28000002
	ds_read_b128 a[44:47], v2 offset:17088                     // 000000004404: DBFE42C0 2C000002
	s_add_u32 s24, s58, s24                                    // 00000000440C: 8018183A
	s_addc_u32 s25, 0, s25                                     // 000000004410: 82191980
	v_mfma_f32_16x16x32_fp8_fp8 v[128:131], a[120:121], a[104:105], v[128:131]// 000000004414: D3F30080 1E02D178
	s_add_u32 s20, s57, s20                                    // 00000000441C: 80141439
	s_addc_u32 s21, 0, s21                                     // 000000004420: 82151580
	v_mfma_f32_16x16x32_fp8_fp8 v[128:131], a[122:123], a[106:107], v[128:131]// 000000004424: D3F30080 1E02D57A
	s_add_u32 s84, s83, s84                                    // 00000000442C: 80545453
	s_addc_u32 s85, 0, s85                                     // 000000004430: 82555580
	v_mfma_f32_16x16x32_fp8_fp8 v[128:131], a[124:125], a[108:109], v[128:131]// 000000004434: D3F30080 1E02D97C
	v_mfma_f32_16x16x32_fp8_fp8 v[128:131], a[126:127], a[110:111], v[128:131]// 00000000443C: D3F30080 1E02DD7E
	ds_read_b128 a[48:51], v2 offset:17536                     // 000000004444: DBFE4480 30000002
	ds_read_b128 a[52:55], v2 offset:17600                     // 00000000444C: DBFE44C0 34000002
	s_addk_i32 s80, 0x80                                       // 000000004454: B7500080
	s_cmp_lt_i32 s80, s81                                      // 000000004458: BF045150
	s_cbranch_scc0 label_085F                                  // 00000000445C: BF8401C7
	s_waitcnt vmcnt(16) lgkmcnt(0)                             // 000000004460: BF8C4070
	v_mfma_f32_16x16x32_fp8_fp8 v[76:79], a[128:129], a[0:1], v[76:79]// 000000004464: D3F3004C 1D320180
	v_mfma_f32_16x16x32_fp8_fp8 v[76:79], a[130:131], a[2:3], v[76:79]// 00000000446C: D3F3004C 1D320582
	buffer_load_dwordx4 a[120:123], v72, s[24:27], 0 offen     // 000000004474: E05C1000 80867848
	v_mfma_f32_16x16x32_fp8_fp8 v[76:79], a[132:133], a[4:5], v[76:79]// 00000000447C: D3F3004C 1D320984
	v_mfma_f32_16x16x32_fp8_fp8 v[76:79], a[134:135], a[6:7], v[76:79]// 000000004484: D3F3004C 1D320D86
	v_mfma_f32_16x16x32_fp8_fp8 v[80:83], a[128:129], a[8:9], v[80:83]// 00000000448C: D3F30050 1D421180
	v_mfma_f32_16x16x32_fp8_fp8 v[80:83], a[130:131], a[10:11], v[80:83]// 000000004494: D3F30050 1D421582
	buffer_load_dwordx4 a[124:127], v72, s[24:27], 0 offen offset:1024// 00000000449C: E05C1400 80867C48
	buffer_load_dword v58, s[20:23], 0 offen lds               // 0000000044A4: E0511000 8005003A
	s_add_u32 m0, 0x100, s48                                   // 0000000044AC: 807C30FF 00000100
	v_mfma_f32_16x16x32_fp8_fp8 v[80:83], a[132:133], a[12:13], v[80:83]// 0000000044B4: D3F30050 1D421984
	v_mfma_f32_16x16x32_fp8_fp8 v[80:83], a[134:135], a[14:15], v[80:83]// 0000000044BC: D3F30050 1D421D86
	buffer_load_dword v59, s[20:23], 0 offen lds               // 0000000044C4: E0511000 8005003B
	s_add_u32 m0, 0x200, s48                                   // 0000000044CC: 807C30FF 00000200
	v_mfma_f32_16x16x32_fp8_fp8 v[84:87], a[128:129], a[16:17], v[84:87]// 0000000044D4: D3F30054 1D522180
	v_mfma_f32_16x16x32_fp8_fp8 v[84:87], a[130:131], a[18:19], v[84:87]// 0000000044DC: D3F30054 1D522582
	buffer_load_dword v60, s[20:23], 0 offen lds               // 0000000044E4: E0511000 8005003C
	s_add_u32 m0, 0x300, s48                                   // 0000000044EC: 807C30FF 00000300
	v_mfma_f32_16x16x32_fp8_fp8 v[84:87], a[132:133], a[20:21], v[84:87]// 0000000044F4: D3F30054 1D522984
	v_mfma_f32_16x16x32_fp8_fp8 v[84:87], a[134:135], a[22:23], v[84:87]// 0000000044FC: D3F30054 1D522D86
	buffer_load_dword v61, s[20:23], 0 offen lds               // 000000004504: E0511000 8005003D
	s_add_u32 m0, 0x400, s48                                   // 00000000450C: 807C30FF 00000400
	v_mfma_f32_16x16x32_fp8_fp8 v[88:91], a[128:129], a[24:25], v[88:91]// 000000004514: D3F30058 1D623180
	v_mfma_f32_16x16x32_fp8_fp8 v[88:91], a[130:131], a[26:27], v[88:91]// 00000000451C: D3F30058 1D623582
	buffer_load_dword v62, s[20:23], 0 offen lds               // 000000004524: E0511000 8005003E
	s_add_u32 m0, 0x500, s48                                   // 00000000452C: 807C30FF 00000500
	v_mfma_f32_16x16x32_fp8_fp8 v[88:91], a[132:133], a[28:29], v[88:91]// 000000004534: D3F30058 1D623984
	v_mfma_f32_16x16x32_fp8_fp8 v[88:91], a[134:135], a[30:31], v[88:91]// 00000000453C: D3F30058 1D623D86
	buffer_load_dword v63, s[20:23], 0 offen lds               // 000000004544: E0511000 8005003F
	s_add_u32 m0, 0x600, s48                                   // 00000000454C: 807C30FF 00000600
	v_mfma_f32_16x16x32_fp8_fp8 v[92:95], a[128:129], a[32:33], v[92:95]// 000000004554: D3F3005C 1D724180
	v_mfma_f32_16x16x32_fp8_fp8 v[92:95], a[130:131], a[34:35], v[92:95]// 00000000455C: D3F3005C 1D724582
	buffer_load_dword v64, s[20:23], 0 offen lds               // 000000004564: E0511000 80050040
	s_add_u32 m0, 0x700, s48                                   // 00000000456C: 807C30FF 00000700
	v_mfma_f32_16x16x32_fp8_fp8 v[92:95], a[132:133], a[36:37], v[92:95]// 000000004574: D3F3005C 1D724984
	v_mfma_f32_16x16x32_fp8_fp8 v[92:95], a[134:135], a[38:39], v[92:95]// 00000000457C: D3F3005C 1D724D86
	buffer_load_dword v65, s[20:23], 0 offen lds               // 000000004584: E0511000 80050041
	s_add_u32 m0, 0x800, s48                                   // 00000000458C: 807C30FF 00000800
	v_mfma_f32_16x16x32_fp8_fp8 v[96:99], a[128:129], a[40:41], v[96:99]// 000000004594: D3F30060 1D825180
	v_mfma_f32_16x16x32_fp8_fp8 v[96:99], a[130:131], a[42:43], v[96:99]// 00000000459C: D3F30060 1D825582
	buffer_load_dword v66, s[20:23], 0 offen lds               // 0000000045A4: E0511000 80050042
	s_add_u32 m0, 0x900, s48                                   // 0000000045AC: 807C30FF 00000900
	v_mfma_f32_16x16x32_fp8_fp8 v[96:99], a[132:133], a[44:45], v[96:99]// 0000000045B4: D3F30060 1D825984
	v_mfma_f32_16x16x32_fp8_fp8 v[96:99], a[134:135], a[46:47], v[96:99]// 0000000045BC: D3F30060 1D825D86
	buffer_load_dword v67, s[20:23], 0 offen lds               // 0000000045C4: E0511000 80050043
	s_add_u32 m0, 0xa00, s48                                   // 0000000045CC: 807C30FF 00000A00
	v_mfma_f32_16x16x32_fp8_fp8 v[100:103], a[128:129], a[48:49], v[100:103]// 0000000045D4: D3F30064 1D926180
	v_mfma_f32_16x16x32_fp8_fp8 v[100:103], a[130:131], a[50:51], v[100:103]// 0000000045DC: D3F30064 1D926582
	buffer_load_dword v68, s[20:23], 0 offen lds               // 0000000045E4: E0511000 80050044
	s_add_u32 m0, 0xb00, s48                                   // 0000000045EC: 807C30FF 00000B00
	v_mfma_f32_16x16x32_fp8_fp8 v[100:103], a[132:133], a[52:53], v[100:103]// 0000000045F4: D3F30064 1D926984
	v_mfma_f32_16x16x32_fp8_fp8 v[100:103], a[134:135], a[54:55], v[100:103]// 0000000045FC: D3F30064 1D926D86
	buffer_load_dword v69, s[20:23], 0 offen lds               // 000000004604: E0511000 80050045
	s_add_u32 m0, 0xc00, s48                                   // 00000000460C: 807C30FF 00000C00
	buffer_load_dword v70, s[20:23], 0 offen lds               // 000000004614: E0511000 80050046
	s_add_u32 m0, 0xd00, s48                                   // 00000000461C: 807C30FF 00000D00
	buffer_load_dword v71, s[20:23], 0 offen lds               // 000000004624: E0511000 80050047
	s_add_u32 m0, 0, s49                                       // 00000000462C: 807C3180
	s_waitcnt vmcnt(16)                                        // 000000004630: BF8C4F70
	s_barrier                                                  // 000000004634: BF8A0000
	v_mfma_f32_16x16x32_fp8_fp8 v[104:107], a[112:113], a[0:1], v[104:107]// 000000004638: D3F30068 1DA20170
	v_mfma_f32_16x16x32_fp8_fp8 v[104:107], a[114:115], a[2:3], v[104:107]// 000000004640: D3F30068 1DA20572
	buffer_load_dwordx4 a[128:131], v72, s[84:87], 0 offen     // 000000004648: E05C1000 80958048
	v_mfma_f32_16x16x32_fp8_fp8 v[104:107], a[116:117], a[4:5], v[104:107]// 000000004650: D3F30068 1DA20974
	v_mfma_f32_16x16x32_fp8_fp8 v[104:107], a[118:119], a[6:7], v[104:107]// 000000004658: D3F30068 1DA20D76
	ds_read_b128 a[56:59], v2 offset:28928                     // 000000004660: DBFE7100 38000002
	ds_read_b128 a[60:63], v2 offset:28992                     // 000000004668: DBFE7140 3C000002
	v_mfma_f32_16x16x32_fp8_fp8 v[108:111], a[112:113], a[8:9], v[108:111]// 000000004670: D3F3006C 1DB21170
	v_mfma_f32_16x16x32_fp8_fp8 v[108:111], a[114:115], a[10:11], v[108:111]// 000000004678: D3F3006C 1DB21572
	buffer_load_dwordx4 a[132:135], v72, s[84:87], 0 offen offset:1024// 000000004680: E05C1400 80958448
	v_mfma_f32_16x16x32_fp8_fp8 v[108:111], a[116:117], a[12:13], v[108:111]// 000000004688: D3F3006C 1DB21974
	v_mfma_f32_16x16x32_fp8_fp8 v[108:111], a[118:119], a[14:15], v[108:111]// 000000004690: D3F3006C 1DB21D76
	ds_read_b128 a[64:67], v2 offset:29440                     // 000000004698: DBFE7300 40000002
	ds_read_b128 a[68:71], v2 offset:29504                     // 0000000046A0: DBFE7340 44000002
	v_mfma_f32_16x16x32_fp8_fp8 v[112:115], a[112:113], a[16:17], v[112:115]// 0000000046A8: D3F30070 1DC22170
	v_mfma_f32_16x16x32_fp8_fp8 v[112:115], a[114:115], a[18:19], v[112:115]// 0000000046B0: D3F30070 1DC22572
	v_mfma_f32_16x16x32_fp8_fp8 v[112:115], a[116:117], a[20:21], v[112:115]// 0000000046B8: D3F30070 1DC22974
	v_mfma_f32_16x16x32_fp8_fp8 v[112:115], a[118:119], a[22:23], v[112:115]// 0000000046C0: D3F30070 1DC22D76
	ds_read_b128 a[72:75], v2 offset:29952                     // 0000000046C8: DBFE7500 48000002
	ds_read_b128 a[76:79], v2 offset:30016                     // 0000000046D0: DBFE7540 4C000002
	v_mfma_f32_16x16x32_fp8_fp8 v[116:119], a[112:113], a[24:25], v[116:119]// 0000000046D8: D3F30074 1DD23170
	v_mfma_f32_16x16x32_fp8_fp8 v[116:119], a[114:115], a[26:27], v[116:119]// 0000000046E0: D3F30074 1DD23572
	v_mfma_f32_16x16x32_fp8_fp8 v[116:119], a[116:117], a[28:29], v[116:119]// 0000000046E8: D3F30074 1DD23974
	v_mfma_f32_16x16x32_fp8_fp8 v[116:119], a[118:119], a[30:31], v[116:119]// 0000000046F0: D3F30074 1DD23D76
	ds_read_b128 a[80:83], v2 offset:30464                     // 0000000046F8: DBFE7700 50000002
	ds_read_b128 a[84:87], v2 offset:30528                     // 000000004700: DBFE7740 54000002
	v_mfma_f32_16x16x32_fp8_fp8 v[120:123], a[112:113], a[32:33], v[120:123]// 000000004708: D3F30078 1DE24170
	v_mfma_f32_16x16x32_fp8_fp8 v[120:123], a[114:115], a[34:35], v[120:123]// 000000004710: D3F30078 1DE24572
	v_mfma_f32_16x16x32_fp8_fp8 v[120:123], a[116:117], a[36:37], v[120:123]// 000000004718: D3F30078 1DE24974
	v_mfma_f32_16x16x32_fp8_fp8 v[120:123], a[118:119], a[38:39], v[120:123]// 000000004720: D3F30078 1DE24D76
	ds_read_b128 a[88:91], v2 offset:30976                     // 000000004728: DBFE7900 58000002
	ds_read_b128 a[92:95], v2 offset:31040                     // 000000004730: DBFE7940 5C000002
	v_mfma_f32_16x16x32_fp8_fp8 v[124:127], a[112:113], a[40:41], v[124:127]// 000000004738: D3F3007C 1DF25170
	s_add_u32 s60, 0x180, s80                                  // 000000004740: 803C50FF 00000180
	s_cmp_lt_u32 s60, s81                                      // 000000004748: BF0A513C
	s_cselect_b32 s57, s57, 0                                  // 00000000474C: 85398039
	v_mfma_f32_16x16x32_fp8_fp8 v[124:127], a[114:115], a[42:43], v[124:127]// 000000004750: D3F3007C 1DF25572
	s_add_u32 s60, 0x100, s80                                  // 000000004758: 803C50FF 00000100
	s_cmp_lt_u32 s60, s81                                      // 000000004760: BF0A513C
	s_cselect_b32 s58, s58, 0                                  // 000000004764: 853A803A
	v_mfma_f32_16x16x32_fp8_fp8 v[124:127], a[116:117], a[44:45], v[124:127]// 000000004768: D3F3007C 1DF25974
	s_add_u32 s60, 0x100, s80                                  // 000000004770: 803C50FF 00000100
	s_cmp_lt_u32 s60, s81                                      // 000000004778: BF0A513C
	s_cselect_b32 s83, s83, 0                                  // 00000000477C: 85538053
	v_mfma_f32_16x16x32_fp8_fp8 v[124:127], a[118:119], a[46:47], v[124:127]// 000000004780: D3F3007C 1DF25D76
	ds_read_b128 a[96:99], v2 offset:31488                     // 000000004788: DBFE7B00 60000002
	ds_read_b128 a[100:103], v2 offset:31552                   // 000000004790: DBFE7B40 64000002
	s_add_u32 s24, s58, s24                                    // 000000004798: 8018183A
	s_addc_u32 s25, 0, s25                                     // 00000000479C: 82191980
	v_mfma_f32_16x16x32_fp8_fp8 v[128:131], a[112:113], a[48:49], v[128:131]// 0000000047A0: D3F30080 1E026170
	s_add_u32 s20, s57, s20                                    // 0000000047A8: 80141439
	s_addc_u32 s21, 0, s21                                     // 0000000047AC: 82151580
	v_mfma_f32_16x16x32_fp8_fp8 v[128:131], a[114:115], a[50:51], v[128:131]// 0000000047B0: D3F30080 1E026572
	s_add_u32 s84, s83, s84                                    // 0000000047B8: 80545453
	s_addc_u32 s85, 0, s85                                     // 0000000047BC: 82555580
	v_mfma_f32_16x16x32_fp8_fp8 v[128:131], a[116:117], a[52:53], v[128:131]// 0000000047C0: D3F30080 1E026974
	v_mfma_f32_16x16x32_fp8_fp8 v[128:131], a[118:119], a[54:55], v[128:131]// 0000000047C8: D3F30080 1E026D76
	ds_read_b128 a[104:107], v2 offset:32000                   // 0000000047D0: DBFE7D00 68000002
	ds_read_b128 a[108:111], v2 offset:32064                   // 0000000047D8: DBFE7D40 6C000002
	s_addk_i32 s80, 0x80                                       // 0000000047E0: B7500080
	s_cmp_lt_i32 s80, s81                                      // 0000000047E4: BF045150
	s_cbranch_scc0 label_085F                                  // 0000000047E8: BF8400E4
	s_waitcnt vmcnt(16) lgkmcnt(0)                             // 0000000047EC: BF8C4070
	v_mfma_f32_16x16x32_fp8_fp8 v[76:79], a[120:121], a[56:57], v[76:79]// 0000000047F0: D3F3004C 1D327178
	v_mfma_f32_16x16x32_fp8_fp8 v[76:79], a[122:123], a[58:59], v[76:79]// 0000000047F8: D3F3004C 1D32757A
	buffer_load_dwordx4 a[112:115], v72, s[24:27], 0 offen     // 000000004800: E05C1000 80867048
	v_mfma_f32_16x16x32_fp8_fp8 v[76:79], a[124:125], a[60:61], v[76:79]// 000000004808: D3F3004C 1D32797C
	v_mfma_f32_16x16x32_fp8_fp8 v[76:79], a[126:127], a[62:63], v[76:79]// 000000004810: D3F3004C 1D327D7E
	v_mfma_f32_16x16x32_fp8_fp8 v[80:83], a[120:121], a[64:65], v[80:83]// 000000004818: D3F30050 1D428178
	v_mfma_f32_16x16x32_fp8_fp8 v[80:83], a[122:123], a[66:67], v[80:83]// 000000004820: D3F30050 1D42857A
	buffer_load_dwordx4 a[116:119], v72, s[24:27], 0 offen offset:1024// 000000004828: E05C1400 80867448
	buffer_load_dword v58, s[20:23], 0 offen lds               // 000000004830: E0511000 8005003A
	s_add_u32 m0, 0x100, s49                                   // 000000004838: 807C31FF 00000100
	v_mfma_f32_16x16x32_fp8_fp8 v[80:83], a[124:125], a[68:69], v[80:83]// 000000004840: D3F30050 1D42897C
	v_mfma_f32_16x16x32_fp8_fp8 v[80:83], a[126:127], a[70:71], v[80:83]// 000000004848: D3F30050 1D428D7E
	buffer_load_dword v59, s[20:23], 0 offen lds               // 000000004850: E0511000 8005003B
	s_add_u32 m0, 0x200, s49                                   // 000000004858: 807C31FF 00000200
	v_mfma_f32_16x16x32_fp8_fp8 v[84:87], a[120:121], a[72:73], v[84:87]// 000000004860: D3F30054 1D529178
	v_mfma_f32_16x16x32_fp8_fp8 v[84:87], a[122:123], a[74:75], v[84:87]// 000000004868: D3F30054 1D52957A
	buffer_load_dword v60, s[20:23], 0 offen lds               // 000000004870: E0511000 8005003C
	s_add_u32 m0, 0x300, s49                                   // 000000004878: 807C31FF 00000300
	v_mfma_f32_16x16x32_fp8_fp8 v[84:87], a[124:125], a[76:77], v[84:87]// 000000004880: D3F30054 1D52997C
	v_mfma_f32_16x16x32_fp8_fp8 v[84:87], a[126:127], a[78:79], v[84:87]// 000000004888: D3F30054 1D529D7E
	buffer_load_dword v61, s[20:23], 0 offen lds               // 000000004890: E0511000 8005003D
	s_add_u32 m0, 0x400, s49                                   // 000000004898: 807C31FF 00000400
	v_mfma_f32_16x16x32_fp8_fp8 v[88:91], a[120:121], a[80:81], v[88:91]// 0000000048A0: D3F30058 1D62A178
	v_mfma_f32_16x16x32_fp8_fp8 v[88:91], a[122:123], a[82:83], v[88:91]// 0000000048A8: D3F30058 1D62A57A
	buffer_load_dword v62, s[20:23], 0 offen lds               // 0000000048B0: E0511000 8005003E
	s_add_u32 m0, 0x500, s49                                   // 0000000048B8: 807C31FF 00000500
	v_mfma_f32_16x16x32_fp8_fp8 v[88:91], a[124:125], a[84:85], v[88:91]// 0000000048C0: D3F30058 1D62A97C
	v_mfma_f32_16x16x32_fp8_fp8 v[88:91], a[126:127], a[86:87], v[88:91]// 0000000048C8: D3F30058 1D62AD7E
	buffer_load_dword v63, s[20:23], 0 offen lds               // 0000000048D0: E0511000 8005003F
	s_add_u32 m0, 0x600, s49                                   // 0000000048D8: 807C31FF 00000600
	v_mfma_f32_16x16x32_fp8_fp8 v[92:95], a[120:121], a[88:89], v[92:95]// 0000000048E0: D3F3005C 1D72B178
	v_mfma_f32_16x16x32_fp8_fp8 v[92:95], a[122:123], a[90:91], v[92:95]// 0000000048E8: D3F3005C 1D72B57A
	buffer_load_dword v64, s[20:23], 0 offen lds               // 0000000048F0: E0511000 80050040
	s_add_u32 m0, 0x700, s49                                   // 0000000048F8: 807C31FF 00000700
	v_mfma_f32_16x16x32_fp8_fp8 v[92:95], a[124:125], a[92:93], v[92:95]// 000000004900: D3F3005C 1D72B97C
	v_mfma_f32_16x16x32_fp8_fp8 v[92:95], a[126:127], a[94:95], v[92:95]// 000000004908: D3F3005C 1D72BD7E
	buffer_load_dword v65, s[20:23], 0 offen lds               // 000000004910: E0511000 80050041
	s_add_u32 m0, 0x800, s49                                   // 000000004918: 807C31FF 00000800
	v_mfma_f32_16x16x32_fp8_fp8 v[96:99], a[120:121], a[96:97], v[96:99]// 000000004920: D3F30060 1D82C178
	v_mfma_f32_16x16x32_fp8_fp8 v[96:99], a[122:123], a[98:99], v[96:99]// 000000004928: D3F30060 1D82C57A
	buffer_load_dword v66, s[20:23], 0 offen lds               // 000000004930: E0511000 80050042
	s_add_u32 m0, 0x900, s49                                   // 000000004938: 807C31FF 00000900
	v_mfma_f32_16x16x32_fp8_fp8 v[96:99], a[124:125], a[100:101], v[96:99]// 000000004940: D3F30060 1D82C97C
	v_mfma_f32_16x16x32_fp8_fp8 v[96:99], a[126:127], a[102:103], v[96:99]// 000000004948: D3F30060 1D82CD7E
	buffer_load_dword v67, s[20:23], 0 offen lds               // 000000004950: E0511000 80050043
	s_add_u32 m0, 0xa00, s49                                   // 000000004958: 807C31FF 00000A00
	v_mfma_f32_16x16x32_fp8_fp8 v[100:103], a[120:121], a[104:105], v[100:103]// 000000004960: D3F30064 1D92D178
	v_mfma_f32_16x16x32_fp8_fp8 v[100:103], a[122:123], a[106:107], v[100:103]// 000000004968: D3F30064 1D92D57A
	buffer_load_dword v68, s[20:23], 0 offen lds               // 000000004970: E0511000 80050044
	s_add_u32 m0, 0xb00, s49                                   // 000000004978: 807C31FF 00000B00
	v_mfma_f32_16x16x32_fp8_fp8 v[100:103], a[124:125], a[108:109], v[100:103]// 000000004980: D3F30064 1D92D97C
	v_mfma_f32_16x16x32_fp8_fp8 v[100:103], a[126:127], a[110:111], v[100:103]// 000000004988: D3F30064 1D92DD7E
	buffer_load_dword v69, s[20:23], 0 offen lds               // 000000004990: E0511000 80050045
	s_add_u32 m0, 0xc00, s49                                   // 000000004998: 807C31FF 00000C00
	buffer_load_dword v70, s[20:23], 0 offen lds               // 0000000049A0: E0511000 80050046
	s_add_u32 m0, 0xd00, s49                                   // 0000000049A8: 807C31FF 00000D00
	buffer_load_dword v71, s[20:23], 0 offen lds               // 0000000049B0: E0511000 80050047
	s_add_u32 m0, 0, s50                                       // 0000000049B8: 807C3280
	s_waitcnt vmcnt(16)                                        // 0000000049BC: BF8C4F70
	s_barrier                                                  // 0000000049C0: BF8A0000
	v_mfma_f32_16x16x32_fp8_fp8 v[104:107], a[128:129], a[56:57], v[104:107]// 0000000049C4: D3F30068 1DA27180
	v_mfma_f32_16x16x32_fp8_fp8 v[104:107], a[130:131], a[58:59], v[104:107]// 0000000049CC: D3F30068 1DA27582
	buffer_load_dwordx4 a[120:123], v72, s[84:87], 0 offen     // 0000000049D4: E05C1000 80957848
	v_mfma_f32_16x16x32_fp8_fp8 v[104:107], a[132:133], a[60:61], v[104:107]// 0000000049DC: D3F30068 1DA27984
	v_mfma_f32_16x16x32_fp8_fp8 v[104:107], a[134:135], a[62:63], v[104:107]// 0000000049E4: D3F30068 1DA27D86
	ds_read_b128 a[0:3], v2                                    // 0000000049EC: DBFE0000 00000002
	ds_read_b128 a[4:7], v2 offset:64                          // 0000000049F4: DBFE0040 04000002
	v_mfma_f32_16x16x32_fp8_fp8 v[108:111], a[128:129], a[64:65], v[108:111]// 0000000049FC: D3F3006C 1DB28180
	v_mfma_f32_16x16x32_fp8_fp8 v[108:111], a[130:131], a[66:67], v[108:111]// 000000004A04: D3F3006C 1DB28582
	buffer_load_dwordx4 a[124:127], v72, s[84:87], 0 offen offset:1024// 000000004A0C: E05C1400 80957C48
	v_mfma_f32_16x16x32_fp8_fp8 v[108:111], a[132:133], a[68:69], v[108:111]// 000000004A14: D3F3006C 1DB28984
	v_mfma_f32_16x16x32_fp8_fp8 v[108:111], a[134:135], a[70:71], v[108:111]// 000000004A1C: D3F3006C 1DB28D86
	ds_read_b128 a[8:11], v2 offset:512                        // 000000004A24: DBFE0200 08000002
	ds_read_b128 a[12:15], v2 offset:576                       // 000000004A2C: DBFE0240 0C000002
	v_mfma_f32_16x16x32_fp8_fp8 v[112:115], a[128:129], a[72:73], v[112:115]// 000000004A34: D3F30070 1DC29180
	v_mfma_f32_16x16x32_fp8_fp8 v[112:115], a[130:131], a[74:75], v[112:115]// 000000004A3C: D3F30070 1DC29582
	v_mfma_f32_16x16x32_fp8_fp8 v[112:115], a[132:133], a[76:77], v[112:115]// 000000004A44: D3F30070 1DC29984
	v_mfma_f32_16x16x32_fp8_fp8 v[112:115], a[134:135], a[78:79], v[112:115]// 000000004A4C: D3F30070 1DC29D86
	ds_read_b128 a[16:19], v2 offset:1024                      // 000000004A54: DBFE0400 10000002
	ds_read_b128 a[20:23], v2 offset:1088                      // 000000004A5C: DBFE0440 14000002
	v_mfma_f32_16x16x32_fp8_fp8 v[116:119], a[128:129], a[80:81], v[116:119]// 000000004A64: D3F30074 1DD2A180
	v_mfma_f32_16x16x32_fp8_fp8 v[116:119], a[130:131], a[82:83], v[116:119]// 000000004A6C: D3F30074 1DD2A582
	v_mfma_f32_16x16x32_fp8_fp8 v[116:119], a[132:133], a[84:85], v[116:119]// 000000004A74: D3F30074 1DD2A984
	v_mfma_f32_16x16x32_fp8_fp8 v[116:119], a[134:135], a[86:87], v[116:119]// 000000004A7C: D3F30074 1DD2AD86
	ds_read_b128 a[24:27], v2 offset:1536                      // 000000004A84: DBFE0600 18000002
	ds_read_b128 a[28:31], v2 offset:1600                      // 000000004A8C: DBFE0640 1C000002
	v_mfma_f32_16x16x32_fp8_fp8 v[120:123], a[128:129], a[88:89], v[120:123]// 000000004A94: D3F30078 1DE2B180
	v_mfma_f32_16x16x32_fp8_fp8 v[120:123], a[130:131], a[90:91], v[120:123]// 000000004A9C: D3F30078 1DE2B582
	v_mfma_f32_16x16x32_fp8_fp8 v[120:123], a[132:133], a[92:93], v[120:123]// 000000004AA4: D3F30078 1DE2B984
	v_mfma_f32_16x16x32_fp8_fp8 v[120:123], a[134:135], a[94:95], v[120:123]// 000000004AAC: D3F30078 1DE2BD86
	ds_read_b128 a[32:35], v2 offset:2048                      // 000000004AB4: DBFE0800 20000002
	ds_read_b128 a[36:39], v2 offset:2112                      // 000000004ABC: DBFE0840 24000002
	v_mfma_f32_16x16x32_fp8_fp8 v[124:127], a[128:129], a[96:97], v[124:127]// 000000004AC4: D3F3007C 1DF2C180
	s_add_u32 s60, 0x180, s80                                  // 000000004ACC: 803C50FF 00000180
	s_cmp_lt_u32 s60, s81                                      // 000000004AD4: BF0A513C
	s_cselect_b32 s57, s57, 0                                  // 000000004AD8: 85398039
	v_mfma_f32_16x16x32_fp8_fp8 v[124:127], a[130:131], a[98:99], v[124:127]// 000000004ADC: D3F3007C 1DF2C582
	s_add_u32 s60, 0x100, s80                                  // 000000004AE4: 803C50FF 00000100
	s_cmp_lt_u32 s60, s81                                      // 000000004AEC: BF0A513C
	s_cselect_b32 s58, s58, 0                                  // 000000004AF0: 853A803A
	v_mfma_f32_16x16x32_fp8_fp8 v[124:127], a[132:133], a[100:101], v[124:127]// 000000004AF4: D3F3007C 1DF2C984
	s_add_u32 s60, 0x100, s80                                  // 000000004AFC: 803C50FF 00000100
	s_cmp_lt_u32 s60, s81                                      // 000000004B04: BF0A513C
	s_cselect_b32 s83, s83, 0                                  // 000000004B08: 85538053
	v_mfma_f32_16x16x32_fp8_fp8 v[124:127], a[134:135], a[102:103], v[124:127]// 000000004B0C: D3F3007C 1DF2CD86
	ds_read_b128 a[40:43], v2 offset:2560                      // 000000004B14: DBFE0A00 28000002
	ds_read_b128 a[44:47], v2 offset:2624                      // 000000004B1C: DBFE0A40 2C000002
	s_add_u32 s24, s58, s24                                    // 000000004B24: 8018183A
	s_addc_u32 s25, 0, s25                                     // 000000004B28: 82191980
	v_mfma_f32_16x16x32_fp8_fp8 v[128:131], a[128:129], a[104:105], v[128:131]// 000000004B2C: D3F30080 1E02D180
	s_add_u32 s20, s57, s20                                    // 000000004B34: 80141439
	s_addc_u32 s21, 0, s21                                     // 000000004B38: 82151580
	v_mfma_f32_16x16x32_fp8_fp8 v[128:131], a[130:131], a[106:107], v[128:131]// 000000004B3C: D3F30080 1E02D582
	s_add_u32 s84, s83, s84                                    // 000000004B44: 80545453
	s_addc_u32 s85, 0, s85                                     // 000000004B48: 82555580
	v_mfma_f32_16x16x32_fp8_fp8 v[128:131], a[132:133], a[108:109], v[128:131]// 000000004B4C: D3F30080 1E02D984
	v_mfma_f32_16x16x32_fp8_fp8 v[128:131], a[134:135], a[110:111], v[128:131]// 000000004B54: D3F30080 1E02DD86
	ds_read_b128 a[48:51], v2 offset:3072                      // 000000004B5C: DBFE0C00 30000002
	ds_read_b128 a[52:55], v2 offset:3136                      // 000000004B64: DBFE0C40 34000002
	s_addk_i32 s80, 0x80                                       // 000000004B6C: B7500080
	s_cmp_lt_i32 s80, s81                                      // 000000004B70: BF045150
	s_cbranch_scc0 label_085F                                  // 000000004B74: BF840001
	s_branch label_030C                                        // 000000004B78: BF82FAAD

0000000000004b7c <label_085F>:
	v_mul_f32_dpp v76, v24, v76 row_newbcast:0 row_mask:0xf bank_mask:0xf// 000000004B7C: 0A9898FA FF015018
	v_mul_f32_dpp v77, v24, v77 row_newbcast:1 row_mask:0xf bank_mask:0xf// 000000004B84: 0A9A9AFA FF015118
	v_mul_f32_dpp v78, v24, v78 row_newbcast:2 row_mask:0xf bank_mask:0xf// 000000004B8C: 0A9C9CFA FF015218
	v_mul_f32_dpp v79, v24, v79 row_newbcast:3 row_mask:0xf bank_mask:0xf// 000000004B94: 0A9E9EFA FF015318
	v_mul_f32_dpp v80, v24, v80 row_newbcast:0 row_mask:0xf bank_mask:0xf// 000000004B9C: 0AA0A0FA FF015018
	v_mul_f32_dpp v81, v24, v81 row_newbcast:1 row_mask:0xf bank_mask:0xf// 000000004BA4: 0AA2A2FA FF015118
	v_mul_f32_dpp v82, v24, v82 row_newbcast:2 row_mask:0xf bank_mask:0xf// 000000004BAC: 0AA4A4FA FF015218
	v_mul_f32_dpp v83, v24, v83 row_newbcast:3 row_mask:0xf bank_mask:0xf// 000000004BB4: 0AA6A6FA FF015318
	v_mul_f32_dpp v84, v24, v84 row_newbcast:0 row_mask:0xf bank_mask:0xf// 000000004BBC: 0AA8A8FA FF015018
	v_mul_f32_dpp v85, v24, v85 row_newbcast:1 row_mask:0xf bank_mask:0xf// 000000004BC4: 0AAAAAFA FF015118
	v_mul_f32_dpp v86, v24, v86 row_newbcast:2 row_mask:0xf bank_mask:0xf// 000000004BCC: 0AACACFA FF015218
	v_mul_f32_dpp v87, v24, v87 row_newbcast:3 row_mask:0xf bank_mask:0xf// 000000004BD4: 0AAEAEFA FF015318
	v_mul_f32_dpp v88, v24, v88 row_newbcast:0 row_mask:0xf bank_mask:0xf// 000000004BDC: 0AB0B0FA FF015018
	v_mul_f32_dpp v89, v24, v89 row_newbcast:1 row_mask:0xf bank_mask:0xf// 000000004BE4: 0AB2B2FA FF015118
	v_mul_f32_dpp v90, v24, v90 row_newbcast:2 row_mask:0xf bank_mask:0xf// 000000004BEC: 0AB4B4FA FF015218
	v_mul_f32_dpp v91, v24, v91 row_newbcast:3 row_mask:0xf bank_mask:0xf// 000000004BF4: 0AB6B6FA FF015318
	v_mul_f32_dpp v92, v24, v92 row_newbcast:0 row_mask:0xf bank_mask:0xf// 000000004BFC: 0AB8B8FA FF015018
	v_mul_f32_dpp v93, v24, v93 row_newbcast:1 row_mask:0xf bank_mask:0xf// 000000004C04: 0ABABAFA FF015118
	v_mul_f32_dpp v94, v24, v94 row_newbcast:2 row_mask:0xf bank_mask:0xf// 000000004C0C: 0ABCBCFA FF015218
	v_mul_f32_dpp v95, v24, v95 row_newbcast:3 row_mask:0xf bank_mask:0xf// 000000004C14: 0ABEBEFA FF015318
	v_mul_f32_dpp v96, v24, v96 row_newbcast:0 row_mask:0xf bank_mask:0xf// 000000004C1C: 0AC0C0FA FF015018
	v_mul_f32_dpp v97, v24, v97 row_newbcast:1 row_mask:0xf bank_mask:0xf// 000000004C24: 0AC2C2FA FF015118
	v_mul_f32_dpp v98, v24, v98 row_newbcast:2 row_mask:0xf bank_mask:0xf// 000000004C2C: 0AC4C4FA FF015218
	v_mul_f32_dpp v99, v24, v99 row_newbcast:3 row_mask:0xf bank_mask:0xf// 000000004C34: 0AC6C6FA FF015318
	v_mul_f32_dpp v100, v24, v100 row_newbcast:0 row_mask:0xf bank_mask:0xf// 000000004C3C: 0AC8C8FA FF015018
	v_mul_f32_dpp v101, v24, v101 row_newbcast:1 row_mask:0xf bank_mask:0xf// 000000004C44: 0ACACAFA FF015118
	v_mul_f32_dpp v102, v24, v102 row_newbcast:2 row_mask:0xf bank_mask:0xf// 000000004C4C: 0ACCCCFA FF015218
	v_mul_f32_dpp v103, v24, v103 row_newbcast:3 row_mask:0xf bank_mask:0xf// 000000004C54: 0ACECEFA FF015318
	v_mul_f32_dpp v104, v27, v104 row_newbcast:0 row_mask:0xf bank_mask:0xf// 000000004C5C: 0AD0D0FA FF01501B
	v_mul_f32_dpp v105, v27, v105 row_newbcast:1 row_mask:0xf bank_mask:0xf// 000000004C64: 0AD2D2FA FF01511B
	v_mul_f32_dpp v106, v27, v106 row_newbcast:2 row_mask:0xf bank_mask:0xf// 000000004C6C: 0AD4D4FA FF01521B
	v_mul_f32_dpp v107, v27, v107 row_newbcast:3 row_mask:0xf bank_mask:0xf// 000000004C74: 0AD6D6FA FF01531B
	v_mul_f32_dpp v108, v27, v108 row_newbcast:0 row_mask:0xf bank_mask:0xf// 000000004C7C: 0AD8D8FA FF01501B
	v_mul_f32_dpp v109, v27, v109 row_newbcast:1 row_mask:0xf bank_mask:0xf// 000000004C84: 0ADADAFA FF01511B
	v_mul_f32_dpp v110, v27, v110 row_newbcast:2 row_mask:0xf bank_mask:0xf// 000000004C8C: 0ADCDCFA FF01521B
	v_mul_f32_dpp v111, v27, v111 row_newbcast:3 row_mask:0xf bank_mask:0xf// 000000004C94: 0ADEDEFA FF01531B
	v_mul_f32_dpp v112, v27, v112 row_newbcast:0 row_mask:0xf bank_mask:0xf// 000000004C9C: 0AE0E0FA FF01501B
	v_mul_f32_dpp v113, v27, v113 row_newbcast:1 row_mask:0xf bank_mask:0xf// 000000004CA4: 0AE2E2FA FF01511B
	v_mul_f32_dpp v114, v27, v114 row_newbcast:2 row_mask:0xf bank_mask:0xf// 000000004CAC: 0AE4E4FA FF01521B
	v_mul_f32_dpp v115, v27, v115 row_newbcast:3 row_mask:0xf bank_mask:0xf// 000000004CB4: 0AE6E6FA FF01531B
	v_mul_f32_dpp v116, v27, v116 row_newbcast:0 row_mask:0xf bank_mask:0xf// 000000004CBC: 0AE8E8FA FF01501B
	v_mul_f32_dpp v117, v27, v117 row_newbcast:1 row_mask:0xf bank_mask:0xf// 000000004CC4: 0AEAEAFA FF01511B
	v_mul_f32_dpp v118, v27, v118 row_newbcast:2 row_mask:0xf bank_mask:0xf// 000000004CCC: 0AECECFA FF01521B
	v_mul_f32_dpp v119, v27, v119 row_newbcast:3 row_mask:0xf bank_mask:0xf// 000000004CD4: 0AEEEEFA FF01531B
	v_mul_f32_dpp v120, v27, v120 row_newbcast:0 row_mask:0xf bank_mask:0xf// 000000004CDC: 0AF0F0FA FF01501B
	v_mul_f32_dpp v121, v27, v121 row_newbcast:1 row_mask:0xf bank_mask:0xf// 000000004CE4: 0AF2F2FA FF01511B
	v_mul_f32_dpp v122, v27, v122 row_newbcast:2 row_mask:0xf bank_mask:0xf// 000000004CEC: 0AF4F4FA FF01521B
	v_mul_f32_dpp v123, v27, v123 row_newbcast:3 row_mask:0xf bank_mask:0xf// 000000004CF4: 0AF6F6FA FF01531B
	v_mul_f32_dpp v124, v27, v124 row_newbcast:0 row_mask:0xf bank_mask:0xf// 000000004CFC: 0AF8F8FA FF01501B
	v_mul_f32_dpp v125, v27, v125 row_newbcast:1 row_mask:0xf bank_mask:0xf// 000000004D04: 0AFAFAFA FF01511B
	v_mul_f32_dpp v126, v27, v126 row_newbcast:2 row_mask:0xf bank_mask:0xf// 000000004D0C: 0AFCFCFA FF01521B
	v_mul_f32_dpp v127, v27, v127 row_newbcast:3 row_mask:0xf bank_mask:0xf// 000000004D14: 0AFEFEFA FF01531B
	v_mul_f32_dpp v128, v27, v128 row_newbcast:0 row_mask:0xf bank_mask:0xf// 000000004D1C: 0B0100FA FF01501B
	v_mul_f32_dpp v129, v27, v129 row_newbcast:1 row_mask:0xf bank_mask:0xf// 000000004D24: 0B0302FA FF01511B
	v_mul_f32_dpp v130, v27, v130 row_newbcast:2 row_mask:0xf bank_mask:0xf// 000000004D2C: 0B0504FA FF01521B
	v_mul_f32_dpp v131, v27, v131 row_newbcast:3 row_mask:0xf bank_mask:0xf// 000000004D34: 0B0706FA FF01531B
	v_mov_b32_e32 v4, v37                                      // 000000004D3C: 7E080325
	v_mov_b32_e32 v5, v4                                       // 000000004D40: 7E0A0304
	v_pk_mul_f32 v[76:77], v[4:5], v[76:77]                    // 000000004D44: D3B1404C 18029904
	v_pk_mul_f32 v[104:105], v[4:5], v[104:105]                // 000000004D4C: D3B14068 1802D104
	v_pk_mul_f32 v[78:79], v[4:5], v[78:79]                    // 000000004D54: D3B1404E 18029D04
	v_pk_mul_f32 v[106:107], v[4:5], v[106:107]                // 000000004D5C: D3B1406A 1802D504
	v_mov_b32_e32 v4, v38                                      // 000000004D64: 7E080326
	v_mov_b32_e32 v5, v4                                       // 000000004D68: 7E0A0304
	v_pk_mul_f32 v[80:81], v[4:5], v[80:81]                    // 000000004D6C: D3B14050 1802A104
	v_pk_mul_f32 v[108:109], v[4:5], v[108:109]                // 000000004D74: D3B1406C 1802D904
	v_pk_mul_f32 v[82:83], v[4:5], v[82:83]                    // 000000004D7C: D3B14052 1802A504
	v_pk_mul_f32 v[110:111], v[4:5], v[110:111]                // 000000004D84: D3B1406E 1802DD04
	v_mov_b32_e32 v4, v39                                      // 000000004D8C: 7E080327
	v_mov_b32_e32 v5, v4                                       // 000000004D90: 7E0A0304
	v_pk_mul_f32 v[84:85], v[4:5], v[84:85]                    // 000000004D94: D3B14054 1802A904
	v_pk_mul_f32 v[112:113], v[4:5], v[112:113]                // 000000004D9C: D3B14070 1802E104
	v_pk_mul_f32 v[86:87], v[4:5], v[86:87]                    // 000000004DA4: D3B14056 1802AD04
	v_pk_mul_f32 v[114:115], v[4:5], v[114:115]                // 000000004DAC: D3B14072 1802E504
	v_mov_b32_e32 v4, v40                                      // 000000004DB4: 7E080328
	v_mov_b32_e32 v5, v4                                       // 000000004DB8: 7E0A0304
	v_pk_mul_f32 v[88:89], v[4:5], v[88:89]                    // 000000004DBC: D3B14058 1802B104
	v_pk_mul_f32 v[116:117], v[4:5], v[116:117]                // 000000004DC4: D3B14074 1802E904
	v_pk_mul_f32 v[90:91], v[4:5], v[90:91]                    // 000000004DCC: D3B1405A 1802B504
	v_pk_mul_f32 v[118:119], v[4:5], v[118:119]                // 000000004DD4: D3B14076 1802ED04
	v_mov_b32_e32 v4, v41                                      // 000000004DDC: 7E080329
	v_mov_b32_e32 v5, v4                                       // 000000004DE0: 7E0A0304
	v_pk_mul_f32 v[92:93], v[4:5], v[92:93]                    // 000000004DE4: D3B1405C 1802B904
	v_pk_mul_f32 v[120:121], v[4:5], v[120:121]                // 000000004DEC: D3B14078 1802F104
	v_pk_mul_f32 v[94:95], v[4:5], v[94:95]                    // 000000004DF4: D3B1405E 1802BD04
	v_pk_mul_f32 v[122:123], v[4:5], v[122:123]                // 000000004DFC: D3B1407A 1802F504
	v_mov_b32_e32 v4, v42                                      // 000000004E04: 7E08032A
	v_mov_b32_e32 v5, v4                                       // 000000004E08: 7E0A0304
	v_pk_mul_f32 v[96:97], v[4:5], v[96:97]                    // 000000004E0C: D3B14060 1802C104
	v_pk_mul_f32 v[124:125], v[4:5], v[124:125]                // 000000004E14: D3B1407C 1802F904
	v_pk_mul_f32 v[98:99], v[4:5], v[98:99]                    // 000000004E1C: D3B14062 1802C504
	v_pk_mul_f32 v[126:127], v[4:5], v[126:127]                // 000000004E24: D3B1407E 1802FD04
	v_mov_b32_e32 v4, v43                                      // 000000004E2C: 7E08032B
	v_mov_b32_e32 v5, v4                                       // 000000004E30: 7E0A0304
	v_pk_mul_f32 v[100:101], v[4:5], v[100:101]                // 000000004E34: D3B14064 1802C904
	v_pk_mul_f32 v[128:129], v[4:5], v[128:129]                // 000000004E3C: D3B14080 18030104
	v_pk_mul_f32 v[102:103], v[4:5], v[102:103]                // 000000004E44: D3B14066 1802CD04
	v_pk_mul_f32 v[130:131], v[4:5], v[130:131]                // 000000004E4C: D3B14082 18030504
	s_cmp_eq_u32 s88, 0                                        // 000000004E54: BF068058
	s_cbranch_scc0 label_0E4E                                  // 000000004E58: BF840537
	s_cmp_eq_u32 s89, 0                                        // 000000004E5C: BF068059
	s_cbranch_scc1 label_0A36                                  // 000000004E60: BF85011D
	v_mov_b32_e32 v8, v1                                       // 000000004E64: 7E100301
	v_mov_b32_e32 v9, v1                                       // 000000004E68: 7E120301
	s_mov_b32 s60, s6                                          // 000000004E6C: BEBC0006
	s_mov_b32 s61, s6                                          // 000000004E70: BEBD0006
	v_pk_mul_f32 v[4:5], v[76:77], v[76:77]                    // 000000004E74: D3B14004 1802994C
	v_pk_mul_f32 v[6:7], v[78:79], v[78:79]                    // 000000004E7C: D3B14006 18029D4E
	v_pk_fma_f32 v[4:5], v[4:5], s[78:79], v[8:9]              // 000000004E84: D3B04004 1C209D04
	v_pk_fma_f32 v[6:7], v[6:7], s[78:79], v[8:9]              // 000000004E8C: D3B04006 1C209D06
	v_pk_mul_f32 v[4:5], v[4:5], v[76:77]                      // 000000004E94: D3B14004 18029904
	v_pk_mul_f32 v[6:7], v[6:7], v[78:79]                      // 000000004E9C: D3B14006 18029D06
	v_pk_mul_f32 v[4:5], v[4:5], s[60:61]                      // 000000004EA4: D3B14004 18007904
	v_pk_mul_f32 v[6:7], v[6:7], s[60:61]                      // 000000004EAC: D3B14006 18007906
	v_exp_f32_e32 v4, v4                                       // 000000004EB4: 7E084104
	v_exp_f32_e32 v5, v5                                       // 000000004EB8: 7E0A4105
	v_exp_f32_e32 v6, v6                                       // 000000004EBC: 7E0C4106
	v_exp_f32_e32 v7, v7                                       // 000000004EC0: 7E0E4107
	v_add_f32_e64 v4, v4, 1.0                                  // 000000004EC4: D1010004 0001E504
	v_add_f32_e64 v5, v5, 1.0                                  // 000000004ECC: D1010005 0001E505
	v_add_f32_e64 v6, v6, 1.0                                  // 000000004ED4: D1010006 0001E506
	v_add_f32_e64 v7, v7, 1.0                                  // 000000004EDC: D1010007 0001E507
	v_rcp_f32_e32 v4, v4                                       // 000000004EE4: 7E084504
	v_rcp_f32_e32 v5, v5                                       // 000000004EE8: 7E0A4505
	v_rcp_f32_e32 v6, v6                                       // 000000004EEC: 7E0C4506
	v_rcp_f32_e32 v7, v7                                       // 000000004EF0: 7E0E4507
	v_mul_f32_e32 v76, v76, v4                                 // 000000004EF4: 0A98094C
	v_mul_f32_e32 v77, v77, v5                                 // 000000004EF8: 0A9A0B4D
	v_mul_f32_e32 v78, v78, v6                                 // 000000004EFC: 0A9C0D4E
	v_mul_f32_e32 v79, v79, v7                                 // 000000004F00: 0A9E0F4F
	v_mul_f32_e32 v76, v76, v104                               // 000000004F04: 0A98D14C
	v_mul_f32_e32 v77, v77, v105                               // 000000004F08: 0A9AD34D
	v_mul_f32_e32 v78, v78, v106                               // 000000004F0C: 0A9CD54E
	v_mul_f32_e32 v79, v79, v107                               // 000000004F10: 0A9ED74F
	v_pk_mul_f32 v[4:5], v[80:81], v[80:81]                    // 000000004F14: D3B14004 1802A150
	v_pk_mul_f32 v[6:7], v[82:83], v[82:83]                    // 000000004F1C: D3B14006 1802A552
	v_pk_fma_f32 v[4:5], v[4:5], s[78:79], v[8:9]              // 000000004F24: D3B04004 1C209D04
	v_pk_fma_f32 v[6:7], v[6:7], s[78:79], v[8:9]              // 000000004F2C: D3B04006 1C209D06
	v_pk_mul_f32 v[4:5], v[4:5], v[80:81]                      // 000000004F34: D3B14004 1802A104
	v_pk_mul_f32 v[6:7], v[6:7], v[82:83]                      // 000000004F3C: D3B14006 1802A506
	v_pk_mul_f32 v[4:5], v[4:5], s[60:61]                      // 000000004F44: D3B14004 18007904
	v_pk_mul_f32 v[6:7], v[6:7], s[60:61]                      // 000000004F4C: D3B14006 18007906
	v_exp_f32_e32 v4, v4                                       // 000000004F54: 7E084104
	v_exp_f32_e32 v5, v5                                       // 000000004F58: 7E0A4105
	v_exp_f32_e32 v6, v6                                       // 000000004F5C: 7E0C4106
	v_exp_f32_e32 v7, v7                                       // 000000004F60: 7E0E4107
	v_add_f32_e64 v4, v4, 1.0                                  // 000000004F64: D1010004 0001E504
	v_add_f32_e64 v5, v5, 1.0                                  // 000000004F6C: D1010005 0001E505
	v_add_f32_e64 v6, v6, 1.0                                  // 000000004F74: D1010006 0001E506
	v_add_f32_e64 v7, v7, 1.0                                  // 000000004F7C: D1010007 0001E507
	v_rcp_f32_e32 v4, v4                                       // 000000004F84: 7E084504
	v_rcp_f32_e32 v5, v5                                       // 000000004F88: 7E0A4505
	v_rcp_f32_e32 v6, v6                                       // 000000004F8C: 7E0C4506
	v_rcp_f32_e32 v7, v7                                       // 000000004F90: 7E0E4507
	v_mul_f32_e32 v80, v80, v4                                 // 000000004F94: 0AA00950
	v_mul_f32_e32 v81, v81, v5                                 // 000000004F98: 0AA20B51
	v_mul_f32_e32 v82, v82, v6                                 // 000000004F9C: 0AA40D52
	v_mul_f32_e32 v83, v83, v7                                 // 000000004FA0: 0AA60F53
	v_mul_f32_e32 v80, v80, v108                               // 000000004FA4: 0AA0D950
	v_mul_f32_e32 v81, v81, v109                               // 000000004FA8: 0AA2DB51
	v_mul_f32_e32 v82, v82, v110                               // 000000004FAC: 0AA4DD52
	v_mul_f32_e32 v83, v83, v111                               // 000000004FB0: 0AA6DF53
	v_pk_mul_f32 v[4:5], v[84:85], v[84:85]                    // 000000004FB4: D3B14004 1802A954
	v_pk_mul_f32 v[6:7], v[86:87], v[86:87]                    // 000000004FBC: D3B14006 1802AD56
	v_pk_fma_f32 v[4:5], v[4:5], s[78:79], v[8:9]              // 000000004FC4: D3B04004 1C209D04
	v_pk_fma_f32 v[6:7], v[6:7], s[78:79], v[8:9]              // 000000004FCC: D3B04006 1C209D06
	v_pk_mul_f32 v[4:5], v[4:5], v[84:85]                      // 000000004FD4: D3B14004 1802A904
	v_pk_mul_f32 v[6:7], v[6:7], v[86:87]                      // 000000004FDC: D3B14006 1802AD06
	v_pk_mul_f32 v[4:5], v[4:5], s[60:61]                      // 000000004FE4: D3B14004 18007904
	v_pk_mul_f32 v[6:7], v[6:7], s[60:61]                      // 000000004FEC: D3B14006 18007906
	v_exp_f32_e32 v4, v4                                       // 000000004FF4: 7E084104
	v_exp_f32_e32 v5, v5                                       // 000000004FF8: 7E0A4105
	v_exp_f32_e32 v6, v6                                       // 000000004FFC: 7E0C4106
	v_exp_f32_e32 v7, v7                                       // 000000005000: 7E0E4107
	v_add_f32_e64 v4, v4, 1.0                                  // 000000005004: D1010004 0001E504
	v_add_f32_e64 v5, v5, 1.0                                  // 00000000500C: D1010005 0001E505
	v_add_f32_e64 v6, v6, 1.0                                  // 000000005014: D1010006 0001E506
	v_add_f32_e64 v7, v7, 1.0                                  // 00000000501C: D1010007 0001E507
	v_rcp_f32_e32 v4, v4                                       // 000000005024: 7E084504
	v_rcp_f32_e32 v5, v5                                       // 000000005028: 7E0A4505
	v_rcp_f32_e32 v6, v6                                       // 00000000502C: 7E0C4506
	v_rcp_f32_e32 v7, v7                                       // 000000005030: 7E0E4507
	v_mul_f32_e32 v84, v84, v4                                 // 000000005034: 0AA80954
	v_mul_f32_e32 v85, v85, v5                                 // 000000005038: 0AAA0B55
	v_mul_f32_e32 v86, v86, v6                                 // 00000000503C: 0AAC0D56
	v_mul_f32_e32 v87, v87, v7                                 // 000000005040: 0AAE0F57
	v_mul_f32_e32 v84, v84, v112                               // 000000005044: 0AA8E154
	v_mul_f32_e32 v85, v85, v113                               // 000000005048: 0AAAE355
	v_mul_f32_e32 v86, v86, v114                               // 00000000504C: 0AACE556
	v_mul_f32_e32 v87, v87, v115                               // 000000005050: 0AAEE757
	v_pk_mul_f32 v[4:5], v[88:89], v[88:89]                    // 000000005054: D3B14004 1802B158
	v_pk_mul_f32 v[6:7], v[90:91], v[90:91]                    // 00000000505C: D3B14006 1802B55A
	v_pk_fma_f32 v[4:5], v[4:5], s[78:79], v[8:9]              // 000000005064: D3B04004 1C209D04
	v_pk_fma_f32 v[6:7], v[6:7], s[78:79], v[8:9]              // 00000000506C: D3B04006 1C209D06
	v_pk_mul_f32 v[4:5], v[4:5], v[88:89]                      // 000000005074: D3B14004 1802B104
	v_pk_mul_f32 v[6:7], v[6:7], v[90:91]                      // 00000000507C: D3B14006 1802B506
	v_pk_mul_f32 v[4:5], v[4:5], s[60:61]                      // 000000005084: D3B14004 18007904
	v_pk_mul_f32 v[6:7], v[6:7], s[60:61]                      // 00000000508C: D3B14006 18007906
	v_exp_f32_e32 v4, v4                                       // 000000005094: 7E084104
	v_exp_f32_e32 v5, v5                                       // 000000005098: 7E0A4105
	v_exp_f32_e32 v6, v6                                       // 00000000509C: 7E0C4106
	v_exp_f32_e32 v7, v7                                       // 0000000050A0: 7E0E4107
	v_add_f32_e64 v4, v4, 1.0                                  // 0000000050A4: D1010004 0001E504
	v_add_f32_e64 v5, v5, 1.0                                  // 0000000050AC: D1010005 0001E505
	v_add_f32_e64 v6, v6, 1.0                                  // 0000000050B4: D1010006 0001E506
	v_add_f32_e64 v7, v7, 1.0                                  // 0000000050BC: D1010007 0001E507
	v_rcp_f32_e32 v4, v4                                       // 0000000050C4: 7E084504
	v_rcp_f32_e32 v5, v5                                       // 0000000050C8: 7E0A4505
	v_rcp_f32_e32 v6, v6                                       // 0000000050CC: 7E0C4506
	v_rcp_f32_e32 v7, v7                                       // 0000000050D0: 7E0E4507
	v_mul_f32_e32 v88, v88, v4                                 // 0000000050D4: 0AB00958
	v_mul_f32_e32 v89, v89, v5                                 // 0000000050D8: 0AB20B59
	v_mul_f32_e32 v90, v90, v6                                 // 0000000050DC: 0AB40D5A
	v_mul_f32_e32 v91, v91, v7                                 // 0000000050E0: 0AB60F5B
	v_mul_f32_e32 v88, v88, v116                               // 0000000050E4: 0AB0E958
	v_mul_f32_e32 v89, v89, v117                               // 0000000050E8: 0AB2EB59
	v_mul_f32_e32 v90, v90, v118                               // 0000000050EC: 0AB4ED5A
	v_mul_f32_e32 v91, v91, v119                               // 0000000050F0: 0AB6EF5B
	v_pk_mul_f32 v[4:5], v[92:93], v[92:93]                    // 0000000050F4: D3B14004 1802B95C
	v_pk_mul_f32 v[6:7], v[94:95], v[94:95]                    // 0000000050FC: D3B14006 1802BD5E
	v_pk_fma_f32 v[4:5], v[4:5], s[78:79], v[8:9]              // 000000005104: D3B04004 1C209D04
	v_pk_fma_f32 v[6:7], v[6:7], s[78:79], v[8:9]              // 00000000510C: D3B04006 1C209D06
	v_pk_mul_f32 v[4:5], v[4:5], v[92:93]                      // 000000005114: D3B14004 1802B904
	v_pk_mul_f32 v[6:7], v[6:7], v[94:95]                      // 00000000511C: D3B14006 1802BD06
	v_pk_mul_f32 v[4:5], v[4:5], s[60:61]                      // 000000005124: D3B14004 18007904
	v_pk_mul_f32 v[6:7], v[6:7], s[60:61]                      // 00000000512C: D3B14006 18007906
	v_exp_f32_e32 v4, v4                                       // 000000005134: 7E084104
	v_exp_f32_e32 v5, v5                                       // 000000005138: 7E0A4105
	v_exp_f32_e32 v6, v6                                       // 00000000513C: 7E0C4106
	v_exp_f32_e32 v7, v7                                       // 000000005140: 7E0E4107
	v_add_f32_e64 v4, v4, 1.0                                  // 000000005144: D1010004 0001E504
	v_add_f32_e64 v5, v5, 1.0                                  // 00000000514C: D1010005 0001E505
	v_add_f32_e64 v6, v6, 1.0                                  // 000000005154: D1010006 0001E506
	v_add_f32_e64 v7, v7, 1.0                                  // 00000000515C: D1010007 0001E507
	v_rcp_f32_e32 v4, v4                                       // 000000005164: 7E084504
	v_rcp_f32_e32 v5, v5                                       // 000000005168: 7E0A4505
	v_rcp_f32_e32 v6, v6                                       // 00000000516C: 7E0C4506
	v_rcp_f32_e32 v7, v7                                       // 000000005170: 7E0E4507
	v_mul_f32_e32 v92, v92, v4                                 // 000000005174: 0AB8095C
	v_mul_f32_e32 v93, v93, v5                                 // 000000005178: 0ABA0B5D
	v_mul_f32_e32 v94, v94, v6                                 // 00000000517C: 0ABC0D5E
	v_mul_f32_e32 v95, v95, v7                                 // 000000005180: 0ABE0F5F
	v_mul_f32_e32 v92, v92, v120                               // 000000005184: 0AB8F15C
	v_mul_f32_e32 v93, v93, v121                               // 000000005188: 0ABAF35D
	v_mul_f32_e32 v94, v94, v122                               // 00000000518C: 0ABCF55E
	v_mul_f32_e32 v95, v95, v123                               // 000000005190: 0ABEF75F
	v_pk_mul_f32 v[4:5], v[96:97], v[96:97]                    // 000000005194: D3B14004 1802C160
	v_pk_mul_f32 v[6:7], v[98:99], v[98:99]                    // 00000000519C: D3B14006 1802C562
	v_pk_fma_f32 v[4:5], v[4:5], s[78:79], v[8:9]              // 0000000051A4: D3B04004 1C209D04
	v_pk_fma_f32 v[6:7], v[6:7], s[78:79], v[8:9]              // 0000000051AC: D3B04006 1C209D06
	v_pk_mul_f32 v[4:5], v[4:5], v[96:97]                      // 0000000051B4: D3B14004 1802C104
	v_pk_mul_f32 v[6:7], v[6:7], v[98:99]                      // 0000000051BC: D3B14006 1802C506
	v_pk_mul_f32 v[4:5], v[4:5], s[60:61]                      // 0000000051C4: D3B14004 18007904
	v_pk_mul_f32 v[6:7], v[6:7], s[60:61]                      // 0000000051CC: D3B14006 18007906
	v_exp_f32_e32 v4, v4                                       // 0000000051D4: 7E084104
	v_exp_f32_e32 v5, v5                                       // 0000000051D8: 7E0A4105
	v_exp_f32_e32 v6, v6                                       // 0000000051DC: 7E0C4106
	v_exp_f32_e32 v7, v7                                       // 0000000051E0: 7E0E4107
	v_add_f32_e64 v4, v4, 1.0                                  // 0000000051E4: D1010004 0001E504
	v_add_f32_e64 v5, v5, 1.0                                  // 0000000051EC: D1010005 0001E505
	v_add_f32_e64 v6, v6, 1.0                                  // 0000000051F4: D1010006 0001E506
	v_add_f32_e64 v7, v7, 1.0                                  // 0000000051FC: D1010007 0001E507
	v_rcp_f32_e32 v4, v4                                       // 000000005204: 7E084504
	v_rcp_f32_e32 v5, v5                                       // 000000005208: 7E0A4505
	v_rcp_f32_e32 v6, v6                                       // 00000000520C: 7E0C4506
	v_rcp_f32_e32 v7, v7                                       // 000000005210: 7E0E4507
	v_mul_f32_e32 v96, v96, v4                                 // 000000005214: 0AC00960
	v_mul_f32_e32 v97, v97, v5                                 // 000000005218: 0AC20B61
	v_mul_f32_e32 v98, v98, v6                                 // 00000000521C: 0AC40D62
	v_mul_f32_e32 v99, v99, v7                                 // 000000005220: 0AC60F63
	v_mul_f32_e32 v96, v96, v124                               // 000000005224: 0AC0F960
	v_mul_f32_e32 v97, v97, v125                               // 000000005228: 0AC2FB61
	v_mul_f32_e32 v98, v98, v126                               // 00000000522C: 0AC4FD62
	v_mul_f32_e32 v99, v99, v127                               // 000000005230: 0AC6FF63
	v_pk_mul_f32 v[4:5], v[100:101], v[100:101]                // 000000005234: D3B14004 1802C964
	v_pk_mul_f32 v[6:7], v[102:103], v[102:103]                // 00000000523C: D3B14006 1802CD66
	v_pk_fma_f32 v[4:5], v[4:5], s[78:79], v[8:9]              // 000000005244: D3B04004 1C209D04
	v_pk_fma_f32 v[6:7], v[6:7], s[78:79], v[8:9]              // 00000000524C: D3B04006 1C209D06
	v_pk_mul_f32 v[4:5], v[4:5], v[100:101]                    // 000000005254: D3B14004 1802C904
	v_pk_mul_f32 v[6:7], v[6:7], v[102:103]                    // 00000000525C: D3B14006 1802CD06
	v_pk_mul_f32 v[4:5], v[4:5], s[60:61]                      // 000000005264: D3B14004 18007904
	v_pk_mul_f32 v[6:7], v[6:7], s[60:61]                      // 00000000526C: D3B14006 18007906
	v_exp_f32_e32 v4, v4                                       // 000000005274: 7E084104
	v_exp_f32_e32 v5, v5                                       // 000000005278: 7E0A4105
	v_exp_f32_e32 v6, v6                                       // 00000000527C: 7E0C4106
	v_exp_f32_e32 v7, v7                                       // 000000005280: 7E0E4107
	v_add_f32_e64 v4, v4, 1.0                                  // 000000005284: D1010004 0001E504
	v_add_f32_e64 v5, v5, 1.0                                  // 00000000528C: D1010005 0001E505
	v_add_f32_e64 v6, v6, 1.0                                  // 000000005294: D1010006 0001E506
	v_add_f32_e64 v7, v7, 1.0                                  // 00000000529C: D1010007 0001E507
	v_rcp_f32_e32 v4, v4                                       // 0000000052A4: 7E084504
	v_rcp_f32_e32 v5, v5                                       // 0000000052A8: 7E0A4505
	v_rcp_f32_e32 v6, v6                                       // 0000000052AC: 7E0C4506
	v_rcp_f32_e32 v7, v7                                       // 0000000052B0: 7E0E4507
	v_mul_f32_e32 v100, v100, v4                               // 0000000052B4: 0AC80964
	v_mul_f32_e32 v101, v101, v5                               // 0000000052B8: 0ACA0B65
	v_mul_f32_e32 v102, v102, v6                               // 0000000052BC: 0ACC0D66
	v_mul_f32_e32 v103, v103, v7                               // 0000000052C0: 0ACE0F67
	v_mul_f32_e32 v100, v100, v128                             // 0000000052C4: 0AC90164
	v_mul_f32_e32 v101, v101, v129                             // 0000000052C8: 0ACB0365
	v_mul_f32_e32 v102, v102, v130                             // 0000000052CC: 0ACD0566
	v_mul_f32_e32 v103, v103, v131                             // 0000000052D0: 0ACF0767
	s_branch label_0B16                                        // 0000000052D4: BF8200E0

00000000000052d8 <label_0A36>:
	v_mul_f32_e64 v4, -v76, s6                                 // 0000000052D8: D1050004 20000D4C
	v_mul_f32_e64 v5, -v77, s6                                 // 0000000052E0: D1050005 20000D4D
	v_mul_f32_e64 v6, -v78, s6                                 // 0000000052E8: D1050006 20000D4E
	v_mul_f32_e64 v7, -v79, s6                                 // 0000000052F0: D1050007 20000D4F
	v_exp_f32_e32 v4, v4                                       // 0000000052F8: 7E084104
	v_exp_f32_e32 v5, v5                                       // 0000000052FC: 7E0A4105
	v_exp_f32_e32 v6, v6                                       // 000000005300: 7E0C4106
	v_exp_f32_e32 v7, v7                                       // 000000005304: 7E0E4107
	v_add_f32_e64 v4, v4, 1.0                                  // 000000005308: D1010004 0001E504
	v_add_f32_e64 v5, v5, 1.0                                  // 000000005310: D1010005 0001E505
	v_add_f32_e64 v6, v6, 1.0                                  // 000000005318: D1010006 0001E506
	v_add_f32_e64 v7, v7, 1.0                                  // 000000005320: D1010007 0001E507
	v_rcp_f32_e32 v4, v4                                       // 000000005328: 7E084504
	v_rcp_f32_e32 v5, v5                                       // 00000000532C: 7E0A4505
	v_rcp_f32_e32 v6, v6                                       // 000000005330: 7E0C4506
	v_rcp_f32_e32 v7, v7                                       // 000000005334: 7E0E4507
	v_mul_f32_e32 v76, v76, v4                                 // 000000005338: 0A98094C
	v_mul_f32_e32 v77, v77, v5                                 // 00000000533C: 0A9A0B4D
	v_mul_f32_e32 v78, v78, v6                                 // 000000005340: 0A9C0D4E
	v_mul_f32_e32 v79, v79, v7                                 // 000000005344: 0A9E0F4F
	v_mul_f32_e32 v76, v76, v104                               // 000000005348: 0A98D14C
	v_mul_f32_e32 v77, v77, v105                               // 00000000534C: 0A9AD34D
	v_mul_f32_e32 v78, v78, v106                               // 000000005350: 0A9CD54E
	v_mul_f32_e32 v79, v79, v107                               // 000000005354: 0A9ED74F
	v_mul_f32_e64 v4, -v80, s6                                 // 000000005358: D1050004 20000D50
	v_mul_f32_e64 v5, -v81, s6                                 // 000000005360: D1050005 20000D51
	v_mul_f32_e64 v6, -v82, s6                                 // 000000005368: D1050006 20000D52
	v_mul_f32_e64 v7, -v83, s6                                 // 000000005370: D1050007 20000D53
	v_exp_f32_e32 v4, v4                                       // 000000005378: 7E084104
	v_exp_f32_e32 v5, v5                                       // 00000000537C: 7E0A4105
	v_exp_f32_e32 v6, v6                                       // 000000005380: 7E0C4106
	v_exp_f32_e32 v7, v7                                       // 000000005384: 7E0E4107
	v_add_f32_e64 v4, v4, 1.0                                  // 000000005388: D1010004 0001E504
	v_add_f32_e64 v5, v5, 1.0                                  // 000000005390: D1010005 0001E505
	v_add_f32_e64 v6, v6, 1.0                                  // 000000005398: D1010006 0001E506
	v_add_f32_e64 v7, v7, 1.0                                  // 0000000053A0: D1010007 0001E507
	v_rcp_f32_e32 v4, v4                                       // 0000000053A8: 7E084504
	v_rcp_f32_e32 v5, v5                                       // 0000000053AC: 7E0A4505
	v_rcp_f32_e32 v6, v6                                       // 0000000053B0: 7E0C4506
	v_rcp_f32_e32 v7, v7                                       // 0000000053B4: 7E0E4507
	v_mul_f32_e32 v80, v80, v4                                 // 0000000053B8: 0AA00950
	v_mul_f32_e32 v81, v81, v5                                 // 0000000053BC: 0AA20B51
	v_mul_f32_e32 v82, v82, v6                                 // 0000000053C0: 0AA40D52
	v_mul_f32_e32 v83, v83, v7                                 // 0000000053C4: 0AA60F53
	v_mul_f32_e32 v80, v80, v108                               // 0000000053C8: 0AA0D950
	v_mul_f32_e32 v81, v81, v109                               // 0000000053CC: 0AA2DB51
	v_mul_f32_e32 v82, v82, v110                               // 0000000053D0: 0AA4DD52
	v_mul_f32_e32 v83, v83, v111                               // 0000000053D4: 0AA6DF53
	v_mul_f32_e64 v4, -v84, s6                                 // 0000000053D8: D1050004 20000D54
	v_mul_f32_e64 v5, -v85, s6                                 // 0000000053E0: D1050005 20000D55
	v_mul_f32_e64 v6, -v86, s6                                 // 0000000053E8: D1050006 20000D56
	v_mul_f32_e64 v7, -v87, s6                                 // 0000000053F0: D1050007 20000D57
	v_exp_f32_e32 v4, v4                                       // 0000000053F8: 7E084104
	v_exp_f32_e32 v5, v5                                       // 0000000053FC: 7E0A4105
	v_exp_f32_e32 v6, v6                                       // 000000005400: 7E0C4106
	v_exp_f32_e32 v7, v7                                       // 000000005404: 7E0E4107
	v_add_f32_e64 v4, v4, 1.0                                  // 000000005408: D1010004 0001E504
	v_add_f32_e64 v5, v5, 1.0                                  // 000000005410: D1010005 0001E505
	v_add_f32_e64 v6, v6, 1.0                                  // 000000005418: D1010006 0001E506
	v_add_f32_e64 v7, v7, 1.0                                  // 000000005420: D1010007 0001E507
	v_rcp_f32_e32 v4, v4                                       // 000000005428: 7E084504
	v_rcp_f32_e32 v5, v5                                       // 00000000542C: 7E0A4505
	v_rcp_f32_e32 v6, v6                                       // 000000005430: 7E0C4506
	v_rcp_f32_e32 v7, v7                                       // 000000005434: 7E0E4507
	v_mul_f32_e32 v84, v84, v4                                 // 000000005438: 0AA80954
	v_mul_f32_e32 v85, v85, v5                                 // 00000000543C: 0AAA0B55
	v_mul_f32_e32 v86, v86, v6                                 // 000000005440: 0AAC0D56
	v_mul_f32_e32 v87, v87, v7                                 // 000000005444: 0AAE0F57
	v_mul_f32_e32 v84, v84, v112                               // 000000005448: 0AA8E154
	v_mul_f32_e32 v85, v85, v113                               // 00000000544C: 0AAAE355
	v_mul_f32_e32 v86, v86, v114                               // 000000005450: 0AACE556
	v_mul_f32_e32 v87, v87, v115                               // 000000005454: 0AAEE757
	v_mul_f32_e64 v4, -v88, s6                                 // 000000005458: D1050004 20000D58
	v_mul_f32_e64 v5, -v89, s6                                 // 000000005460: D1050005 20000D59
	v_mul_f32_e64 v6, -v90, s6                                 // 000000005468: D1050006 20000D5A
	v_mul_f32_e64 v7, -v91, s6                                 // 000000005470: D1050007 20000D5B
	v_exp_f32_e32 v4, v4                                       // 000000005478: 7E084104
	v_exp_f32_e32 v5, v5                                       // 00000000547C: 7E0A4105
	v_exp_f32_e32 v6, v6                                       // 000000005480: 7E0C4106
	v_exp_f32_e32 v7, v7                                       // 000000005484: 7E0E4107
	v_add_f32_e64 v4, v4, 1.0                                  // 000000005488: D1010004 0001E504
	v_add_f32_e64 v5, v5, 1.0                                  // 000000005490: D1010005 0001E505
	v_add_f32_e64 v6, v6, 1.0                                  // 000000005498: D1010006 0001E506
	v_add_f32_e64 v7, v7, 1.0                                  // 0000000054A0: D1010007 0001E507
	v_rcp_f32_e32 v4, v4                                       // 0000000054A8: 7E084504
	v_rcp_f32_e32 v5, v5                                       // 0000000054AC: 7E0A4505
	v_rcp_f32_e32 v6, v6                                       // 0000000054B0: 7E0C4506
	v_rcp_f32_e32 v7, v7                                       // 0000000054B4: 7E0E4507
	v_mul_f32_e32 v88, v88, v4                                 // 0000000054B8: 0AB00958
	v_mul_f32_e32 v89, v89, v5                                 // 0000000054BC: 0AB20B59
	v_mul_f32_e32 v90, v90, v6                                 // 0000000054C0: 0AB40D5A
	v_mul_f32_e32 v91, v91, v7                                 // 0000000054C4: 0AB60F5B
	v_mul_f32_e32 v88, v88, v116                               // 0000000054C8: 0AB0E958
	v_mul_f32_e32 v89, v89, v117                               // 0000000054CC: 0AB2EB59
	v_mul_f32_e32 v90, v90, v118                               // 0000000054D0: 0AB4ED5A
	v_mul_f32_e32 v91, v91, v119                               // 0000000054D4: 0AB6EF5B
	v_mul_f32_e64 v4, -v92, s6                                 // 0000000054D8: D1050004 20000D5C
	v_mul_f32_e64 v5, -v93, s6                                 // 0000000054E0: D1050005 20000D5D
	v_mul_f32_e64 v6, -v94, s6                                 // 0000000054E8: D1050006 20000D5E
	v_mul_f32_e64 v7, -v95, s6                                 // 0000000054F0: D1050007 20000D5F
	v_exp_f32_e32 v4, v4                                       // 0000000054F8: 7E084104
	v_exp_f32_e32 v5, v5                                       // 0000000054FC: 7E0A4105
	v_exp_f32_e32 v6, v6                                       // 000000005500: 7E0C4106
	v_exp_f32_e32 v7, v7                                       // 000000005504: 7E0E4107
	v_add_f32_e64 v4, v4, 1.0                                  // 000000005508: D1010004 0001E504
	v_add_f32_e64 v5, v5, 1.0                                  // 000000005510: D1010005 0001E505
	v_add_f32_e64 v6, v6, 1.0                                  // 000000005518: D1010006 0001E506
	v_add_f32_e64 v7, v7, 1.0                                  // 000000005520: D1010007 0001E507
	v_rcp_f32_e32 v4, v4                                       // 000000005528: 7E084504
	v_rcp_f32_e32 v5, v5                                       // 00000000552C: 7E0A4505
	v_rcp_f32_e32 v6, v6                                       // 000000005530: 7E0C4506
	v_rcp_f32_e32 v7, v7                                       // 000000005534: 7E0E4507
	v_mul_f32_e32 v92, v92, v4                                 // 000000005538: 0AB8095C
	v_mul_f32_e32 v93, v93, v5                                 // 00000000553C: 0ABA0B5D
	v_mul_f32_e32 v94, v94, v6                                 // 000000005540: 0ABC0D5E
	v_mul_f32_e32 v95, v95, v7                                 // 000000005544: 0ABE0F5F
	v_mul_f32_e32 v92, v92, v120                               // 000000005548: 0AB8F15C
	v_mul_f32_e32 v93, v93, v121                               // 00000000554C: 0ABAF35D
	v_mul_f32_e32 v94, v94, v122                               // 000000005550: 0ABCF55E
	v_mul_f32_e32 v95, v95, v123                               // 000000005554: 0ABEF75F
	v_mul_f32_e64 v4, -v96, s6                                 // 000000005558: D1050004 20000D60
	v_mul_f32_e64 v5, -v97, s6                                 // 000000005560: D1050005 20000D61
	v_mul_f32_e64 v6, -v98, s6                                 // 000000005568: D1050006 20000D62
	v_mul_f32_e64 v7, -v99, s6                                 // 000000005570: D1050007 20000D63
	v_exp_f32_e32 v4, v4                                       // 000000005578: 7E084104
	v_exp_f32_e32 v5, v5                                       // 00000000557C: 7E0A4105
	v_exp_f32_e32 v6, v6                                       // 000000005580: 7E0C4106
	v_exp_f32_e32 v7, v7                                       // 000000005584: 7E0E4107
	v_add_f32_e64 v4, v4, 1.0                                  // 000000005588: D1010004 0001E504
	v_add_f32_e64 v5, v5, 1.0                                  // 000000005590: D1010005 0001E505
	v_add_f32_e64 v6, v6, 1.0                                  // 000000005598: D1010006 0001E506
	v_add_f32_e64 v7, v7, 1.0                                  // 0000000055A0: D1010007 0001E507
	v_rcp_f32_e32 v4, v4                                       // 0000000055A8: 7E084504
	v_rcp_f32_e32 v5, v5                                       // 0000000055AC: 7E0A4505
	v_rcp_f32_e32 v6, v6                                       // 0000000055B0: 7E0C4506
	v_rcp_f32_e32 v7, v7                                       // 0000000055B4: 7E0E4507
	v_mul_f32_e32 v96, v96, v4                                 // 0000000055B8: 0AC00960
	v_mul_f32_e32 v97, v97, v5                                 // 0000000055BC: 0AC20B61
	v_mul_f32_e32 v98, v98, v6                                 // 0000000055C0: 0AC40D62
	v_mul_f32_e32 v99, v99, v7                                 // 0000000055C4: 0AC60F63
	v_mul_f32_e32 v96, v96, v124                               // 0000000055C8: 0AC0F960
	v_mul_f32_e32 v97, v97, v125                               // 0000000055CC: 0AC2FB61
	v_mul_f32_e32 v98, v98, v126                               // 0000000055D0: 0AC4FD62
	v_mul_f32_e32 v99, v99, v127                               // 0000000055D4: 0AC6FF63
	v_mul_f32_e64 v4, -v100, s6                                // 0000000055D8: D1050004 20000D64
	v_mul_f32_e64 v5, -v101, s6                                // 0000000055E0: D1050005 20000D65
	v_mul_f32_e64 v6, -v102, s6                                // 0000000055E8: D1050006 20000D66
	v_mul_f32_e64 v7, -v103, s6                                // 0000000055F0: D1050007 20000D67
	v_exp_f32_e32 v4, v4                                       // 0000000055F8: 7E084104
	v_exp_f32_e32 v5, v5                                       // 0000000055FC: 7E0A4105
	v_exp_f32_e32 v6, v6                                       // 000000005600: 7E0C4106
	v_exp_f32_e32 v7, v7                                       // 000000005604: 7E0E4107
	v_add_f32_e64 v4, v4, 1.0                                  // 000000005608: D1010004 0001E504
	v_add_f32_e64 v5, v5, 1.0                                  // 000000005610: D1010005 0001E505
	v_add_f32_e64 v6, v6, 1.0                                  // 000000005618: D1010006 0001E506
	v_add_f32_e64 v7, v7, 1.0                                  // 000000005620: D1010007 0001E507
	v_rcp_f32_e32 v4, v4                                       // 000000005628: 7E084504
	v_rcp_f32_e32 v5, v5                                       // 00000000562C: 7E0A4505
	v_rcp_f32_e32 v6, v6                                       // 000000005630: 7E0C4506
	v_rcp_f32_e32 v7, v7                                       // 000000005634: 7E0E4507
	v_mul_f32_e32 v100, v100, v4                               // 000000005638: 0AC80964
	v_mul_f32_e32 v101, v101, v5                               // 00000000563C: 0ACA0B65
	v_mul_f32_e32 v102, v102, v6                               // 000000005640: 0ACC0D66
	v_mul_f32_e32 v103, v103, v7                               // 000000005644: 0ACE0F67
	v_mul_f32_e32 v100, v100, v128                             // 000000005648: 0AC90164
	v_mul_f32_e32 v101, v101, v129                             // 00000000564C: 0ACB0365
	v_mul_f32_e32 v102, v102, v130                             // 000000005650: 0ACD0566
	v_mul_f32_e32 v103, v103, v131                             // 000000005654: 0ACF0767

0000000000005658 <label_0B16>:
	v_cmp_u_f32_e64 s[46:47], v76, v76                         // 000000005658: D048002E 0002994C
	v_add3_u32 v16, v76, v19, 1                                // 000000005660: D1FF0010 0206274C
	v_cndmask_b32_e64 v4, v16, v18, s[46:47]                   // 000000005668: D1000004 00BA2510
	v_cmp_u_f32_e64 s[46:47], v77, v77                         // 000000005670: D048002E 00029B4D
	v_add3_u32 v16, v77, v19, 1                                // 000000005678: D1FF0010 0206274D
	v_cndmask_b32_e64 v5, v16, v18, s[46:47]                   // 000000005680: D1000005 00BA2510
	v_perm_b32 v76, v5, v4, s52                                // 000000005688: D1ED004C 00D20905
	v_cmp_u_f32_e64 s[46:47], v78, v78                         // 000000005690: D048002E 00029D4E
	v_add3_u32 v16, v78, v19, 1                                // 000000005698: D1FF0010 0206274E
	v_cndmask_b32_e64 v4, v16, v18, s[46:47]                   // 0000000056A0: D1000004 00BA2510
	v_cmp_u_f32_e64 s[46:47], v79, v79                         // 0000000056A8: D048002E 00029F4F
	v_add3_u32 v16, v79, v19, 1                                // 0000000056B0: D1FF0010 0206274F
	v_cndmask_b32_e64 v5, v16, v18, s[46:47]                   // 0000000056B8: D1000005 00BA2510
	v_perm_b32 v77, v5, v4, s52                                // 0000000056C0: D1ED004D 00D20905
	v_cmp_u_f32_e64 s[46:47], v80, v80                         // 0000000056C8: D048002E 0002A150
	v_add3_u32 v16, v80, v19, 1                                // 0000000056D0: D1FF0010 02062750
	v_cndmask_b32_e64 v4, v16, v18, s[46:47]                   // 0000000056D8: D1000004 00BA2510
	v_cmp_u_f32_e64 s[46:47], v81, v81                         // 0000000056E0: D048002E 0002A351
	v_add3_u32 v16, v81, v19, 1                                // 0000000056E8: D1FF0010 02062751
	v_cndmask_b32_e64 v5, v16, v18, s[46:47]                   // 0000000056F0: D1000005 00BA2510
	v_perm_b32 v78, v5, v4, s52                                // 0000000056F8: D1ED004E 00D20905
	v_cmp_u_f32_e64 s[46:47], v82, v82                         // 000000005700: D048002E 0002A552
	v_add3_u32 v16, v82, v19, 1                                // 000000005708: D1FF0010 02062752
	v_cndmask_b32_e64 v4, v16, v18, s[46:47]                   // 000000005710: D1000004 00BA2510
	v_cmp_u_f32_e64 s[46:47], v83, v83                         // 000000005718: D048002E 0002A753
	v_add3_u32 v16, v83, v19, 1                                // 000000005720: D1FF0010 02062753
	v_cndmask_b32_e64 v5, v16, v18, s[46:47]                   // 000000005728: D1000005 00BA2510
	v_perm_b32 v79, v5, v4, s52                                // 000000005730: D1ED004F 00D20905
	v_cmp_u_f32_e64 s[46:47], v84, v84                         // 000000005738: D048002E 0002A954
	v_add3_u32 v16, v84, v19, 1                                // 000000005740: D1FF0010 02062754
	v_cndmask_b32_e64 v4, v16, v18, s[46:47]                   // 000000005748: D1000004 00BA2510
	v_cmp_u_f32_e64 s[46:47], v85, v85                         // 000000005750: D048002E 0002AB55
	v_add3_u32 v16, v85, v19, 1                                // 000000005758: D1FF0010 02062755
	v_cndmask_b32_e64 v5, v16, v18, s[46:47]                   // 000000005760: D1000005 00BA2510
	v_perm_b32 v80, v5, v4, s52                                // 000000005768: D1ED0050 00D20905
	v_cmp_u_f32_e64 s[46:47], v86, v86                         // 000000005770: D048002E 0002AD56
	v_add3_u32 v16, v86, v19, 1                                // 000000005778: D1FF0010 02062756
	v_cndmask_b32_e64 v4, v16, v18, s[46:47]                   // 000000005780: D1000004 00BA2510
	v_cmp_u_f32_e64 s[46:47], v87, v87                         // 000000005788: D048002E 0002AF57
	v_add3_u32 v16, v87, v19, 1                                // 000000005790: D1FF0010 02062757
	v_cndmask_b32_e64 v5, v16, v18, s[46:47]                   // 000000005798: D1000005 00BA2510
	v_perm_b32 v81, v5, v4, s52                                // 0000000057A0: D1ED0051 00D20905
	v_cmp_u_f32_e64 s[46:47], v88, v88                         // 0000000057A8: D048002E 0002B158
	v_add3_u32 v16, v88, v19, 1                                // 0000000057B0: D1FF0010 02062758
	v_cndmask_b32_e64 v4, v16, v18, s[46:47]                   // 0000000057B8: D1000004 00BA2510
	v_cmp_u_f32_e64 s[46:47], v89, v89                         // 0000000057C0: D048002E 0002B359
	v_add3_u32 v16, v89, v19, 1                                // 0000000057C8: D1FF0010 02062759
	v_cndmask_b32_e64 v5, v16, v18, s[46:47]                   // 0000000057D0: D1000005 00BA2510
	v_perm_b32 v82, v5, v4, s52                                // 0000000057D8: D1ED0052 00D20905
	v_cmp_u_f32_e64 s[46:47], v90, v90                         // 0000000057E0: D048002E 0002B55A
	v_add3_u32 v16, v90, v19, 1                                // 0000000057E8: D1FF0010 0206275A
	v_cndmask_b32_e64 v4, v16, v18, s[46:47]                   // 0000000057F0: D1000004 00BA2510
	v_cmp_u_f32_e64 s[46:47], v91, v91                         // 0000000057F8: D048002E 0002B75B
	v_add3_u32 v16, v91, v19, 1                                // 000000005800: D1FF0010 0206275B
	v_cndmask_b32_e64 v5, v16, v18, s[46:47]                   // 000000005808: D1000005 00BA2510
	v_perm_b32 v83, v5, v4, s52                                // 000000005810: D1ED0053 00D20905
	v_cmp_u_f32_e64 s[46:47], v92, v92                         // 000000005818: D048002E 0002B95C
	v_add3_u32 v16, v92, v19, 1                                // 000000005820: D1FF0010 0206275C
	v_cndmask_b32_e64 v4, v16, v18, s[46:47]                   // 000000005828: D1000004 00BA2510
	v_cmp_u_f32_e64 s[46:47], v93, v93                         // 000000005830: D048002E 0002BB5D
	v_add3_u32 v16, v93, v19, 1                                // 000000005838: D1FF0010 0206275D
	v_cndmask_b32_e64 v5, v16, v18, s[46:47]                   // 000000005840: D1000005 00BA2510
	v_perm_b32 v84, v5, v4, s52                                // 000000005848: D1ED0054 00D20905
	v_cmp_u_f32_e64 s[46:47], v94, v94                         // 000000005850: D048002E 0002BD5E
	v_add3_u32 v16, v94, v19, 1                                // 000000005858: D1FF0010 0206275E
	v_cndmask_b32_e64 v4, v16, v18, s[46:47]                   // 000000005860: D1000004 00BA2510
	v_cmp_u_f32_e64 s[46:47], v95, v95                         // 000000005868: D048002E 0002BF5F
	v_add3_u32 v16, v95, v19, 1                                // 000000005870: D1FF0010 0206275F
	v_cndmask_b32_e64 v5, v16, v18, s[46:47]                   // 000000005878: D1000005 00BA2510
	v_perm_b32 v85, v5, v4, s52                                // 000000005880: D1ED0055 00D20905
	v_cmp_u_f32_e64 s[46:47], v96, v96                         // 000000005888: D048002E 0002C160
	v_add3_u32 v16, v96, v19, 1                                // 000000005890: D1FF0010 02062760
	v_cndmask_b32_e64 v4, v16, v18, s[46:47]                   // 000000005898: D1000004 00BA2510
	v_cmp_u_f32_e64 s[46:47], v97, v97                         // 0000000058A0: D048002E 0002C361
	v_add3_u32 v16, v97, v19, 1                                // 0000000058A8: D1FF0010 02062761
	v_cndmask_b32_e64 v5, v16, v18, s[46:47]                   // 0000000058B0: D1000005 00BA2510
	v_perm_b32 v86, v5, v4, s52                                // 0000000058B8: D1ED0056 00D20905
	v_cmp_u_f32_e64 s[46:47], v98, v98                         // 0000000058C0: D048002E 0002C562
	v_add3_u32 v16, v98, v19, 1                                // 0000000058C8: D1FF0010 02062762
	v_cndmask_b32_e64 v4, v16, v18, s[46:47]                   // 0000000058D0: D1000004 00BA2510
	v_cmp_u_f32_e64 s[46:47], v99, v99                         // 0000000058D8: D048002E 0002C763
	v_add3_u32 v16, v99, v19, 1                                // 0000000058E0: D1FF0010 02062763
	v_cndmask_b32_e64 v5, v16, v18, s[46:47]                   // 0000000058E8: D1000005 00BA2510
	v_perm_b32 v87, v5, v4, s52                                // 0000000058F0: D1ED0057 00D20905
	v_cmp_u_f32_e64 s[46:47], v100, v100                       // 0000000058F8: D048002E 0002C964
	v_add3_u32 v16, v100, v19, 1                               // 000000005900: D1FF0010 02062764
	v_cndmask_b32_e64 v4, v16, v18, s[46:47]                   // 000000005908: D1000004 00BA2510
	v_cmp_u_f32_e64 s[46:47], v101, v101                       // 000000005910: D048002E 0002CB65
	v_add3_u32 v16, v101, v19, 1                               // 000000005918: D1FF0010 02062765
	v_cndmask_b32_e64 v5, v16, v18, s[46:47]                   // 000000005920: D1000005 00BA2510
	v_perm_b32 v88, v5, v4, s52                                // 000000005928: D1ED0058 00D20905
	v_cmp_u_f32_e64 s[46:47], v102, v102                       // 000000005930: D048002E 0002CD66
	v_add3_u32 v16, v102, v19, 1                               // 000000005938: D1FF0010 02062766
	v_cndmask_b32_e64 v4, v16, v18, s[46:47]                   // 000000005940: D1000004 00BA2510
	v_cmp_u_f32_e64 s[46:47], v103, v103                       // 000000005948: D048002E 0002CF67
	v_add3_u32 v16, v103, v19, 1                               // 000000005950: D1FF0010 02062767
	v_cndmask_b32_e64 v5, v16, v18, s[46:47]                   // 000000005958: D1000005 00BA2510
	v_perm_b32 v89, v5, v4, s52                                // 000000005960: D1ED0059 00D20905
	ds_write_b64 v20, v[76:77]                                 // 000000005968: D89A0000 00004C14
	ds_write_b64 v20, v[78:79] offset:2176                     // 000000005970: D89A0880 00004E14
	ds_write_b64 v20, v[80:81] offset:4352                     // 000000005978: D89A1100 00005014
	ds_write_b64 v20, v[82:83] offset:6528                     // 000000005980: D89A1980 00005214
	ds_write_b64 v20, v[84:85] offset:8704                     // 000000005988: D89A2200 00005414
	ds_write_b64 v20, v[86:87] offset:10880                    // 000000005990: D89A2A80 00005614
	ds_write_b64 v20, v[88:89] offset:13056                    // 000000005998: D89A3300 00005814
	v_lshrrev_b32_e32 v4, 5, v0                                // 0000000059A0: 20080085
	v_xor_b32_e32 v5, 1, v4                                    // 0000000059A4: 2A0A0881
	s_mul_i32 s60, s65, 2                                      // 0000000059A8: 923C8241
	s_cmp_eq_u32 s88, 0                                        // 0000000059AC: BF068058
	s_cselect_b32 s61, 1, 4                                    // 0000000059B0: 853D8481
	s_mul_i32 s60, s61, s60                                    // 0000000059B4: 923C3C3D
	v_readlane_b32 s82, v3, 0                                  // 0000000059B8: D2890052 00010103
	s_lshr_b32 s61, s82, 24                                    // 0000000059C0: 8F3D9852
	s_and_b32 s82, s82, 0xffffff                               // 0000000059C4: 8652FF52 00FFFFFF
	s_mul_i32 s82, s82, s71                                    // 0000000059CC: 92524752
	s_mul_i32 s61, s60, s61                                    // 0000000059D0: 923D3D3C
	s_add_u32 s82, s82, s61                                    // 0000000059D4: 80523D52
	v_mul_lo_u32 v6, v5, s82                                   // 0000000059D8: D2850006 0000A505
	v_readlane_b32 s82, v3, 1                                  // 0000000059E0: D2890052 00010303
	s_lshr_b32 s61, s82, 24                                    // 0000000059E8: 8F3D9852
	s_and_b32 s82, s82, 0xffffff                               // 0000000059EC: 8652FF52 00FFFFFF
	s_mul_i32 s82, s82, s71                                    // 0000000059F4: 92524752
	s_mul_i32 s61, s60, s61                                    // 0000000059F8: 923D3D3C
	s_add_u32 s82, s82, s61                                    // 0000000059FC: 80523D52
	v_mul_lo_u32 v7, v4, s82                                   // 000000005A00: D2850007 0000A504
	v_add_u32_e32 v58, v6, v7                                  // 000000005A08: 68740F06
	v_readlane_b32 s82, v3, 2                                  // 000000005A0C: D2890052 00010503
	s_lshr_b32 s61, s82, 24                                    // 000000005A14: 8F3D9852
	s_and_b32 s82, s82, 0xffffff                               // 000000005A18: 8652FF52 00FFFFFF
	s_mul_i32 s82, s82, s71                                    // 000000005A20: 92524752
	s_mul_i32 s61, s60, s61                                    // 000000005A24: 923D3D3C
	s_add_u32 s82, s82, s61                                    // 000000005A28: 80523D52
	v_mul_lo_u32 v6, v5, s82                                   // 000000005A2C: D2850006 0000A505
	v_readlane_b32 s82, v3, 3                                  // 000000005A34: D2890052 00010703
	s_lshr_b32 s61, s82, 24                                    // 000000005A3C: 8F3D9852
	s_and_b32 s82, s82, 0xffffff                               // 000000005A40: 8652FF52 00FFFFFF
	s_mul_i32 s82, s82, s71                                    // 000000005A48: 92524752
	s_mul_i32 s61, s60, s61                                    // 000000005A4C: 923D3D3C
	s_add_u32 s82, s82, s61                                    // 000000005A50: 80523D52
	v_mul_lo_u32 v7, v4, s82                                   // 000000005A54: D2850007 0000A504
	v_add_u32_e32 v59, v6, v7                                  // 000000005A5C: 68760F06
	v_readlane_b32 s82, v3, 4                                  // 000000005A60: D2890052 00010903
	s_lshr_b32 s61, s82, 24                                    // 000000005A68: 8F3D9852
	s_and_b32 s82, s82, 0xffffff                               // 000000005A6C: 8652FF52 00FFFFFF
	s_mul_i32 s82, s82, s71                                    // 000000005A74: 92524752
	s_mul_i32 s61, s60, s61                                    // 000000005A78: 923D3D3C
	s_add_u32 s82, s82, s61                                    // 000000005A7C: 80523D52
	v_mul_lo_u32 v6, v5, s82                                   // 000000005A80: D2850006 0000A505
	v_readlane_b32 s82, v3, 5                                  // 000000005A88: D2890052 00010B03
	s_lshr_b32 s61, s82, 24                                    // 000000005A90: 8F3D9852
	s_and_b32 s82, s82, 0xffffff                               // 000000005A94: 8652FF52 00FFFFFF
	s_mul_i32 s82, s82, s71                                    // 000000005A9C: 92524752
	s_mul_i32 s61, s60, s61                                    // 000000005AA0: 923D3D3C
	s_add_u32 s82, s82, s61                                    // 000000005AA4: 80523D52
	v_mul_lo_u32 v7, v4, s82                                   // 000000005AA8: D2850007 0000A504
	v_add_u32_e32 v60, v6, v7                                  // 000000005AB0: 68780F06
	v_readlane_b32 s82, v3, 6                                  // 000000005AB4: D2890052 00010D03
	s_lshr_b32 s61, s82, 24                                    // 000000005ABC: 8F3D9852
	s_and_b32 s82, s82, 0xffffff                               // 000000005AC0: 8652FF52 00FFFFFF
	s_mul_i32 s82, s82, s71                                    // 000000005AC8: 92524752
	s_mul_i32 s61, s60, s61                                    // 000000005ACC: 923D3D3C
	s_add_u32 s82, s82, s61                                    // 000000005AD0: 80523D52
	v_mul_lo_u32 v6, v5, s82                                   // 000000005AD4: D2850006 0000A505
	v_readlane_b32 s82, v3, 7                                  // 000000005ADC: D2890052 00010F03
	s_lshr_b32 s61, s82, 24                                    // 000000005AE4: 8F3D9852
	s_and_b32 s82, s82, 0xffffff                               // 000000005AE8: 8652FF52 00FFFFFF
	s_mul_i32 s82, s82, s71                                    // 000000005AF0: 92524752
	s_mul_i32 s61, s60, s61                                    // 000000005AF4: 923D3D3C
	s_add_u32 s82, s82, s61                                    // 000000005AF8: 80523D52
	v_mul_lo_u32 v7, v4, s82                                   // 000000005AFC: D2850007 0000A504
	v_add_u32_e32 v61, v6, v7                                  // 000000005B04: 687A0F06
	v_readlane_b32 s82, v3, 8                                  // 000000005B08: D2890052 00011103
	s_lshr_b32 s61, s82, 24                                    // 000000005B10: 8F3D9852
	s_and_b32 s82, s82, 0xffffff                               // 000000005B14: 8652FF52 00FFFFFF
	s_mul_i32 s82, s82, s71                                    // 000000005B1C: 92524752
	s_mul_i32 s61, s60, s61                                    // 000000005B20: 923D3D3C
	s_add_u32 s82, s82, s61                                    // 000000005B24: 80523D52
	v_mul_lo_u32 v6, v5, s82                                   // 000000005B28: D2850006 0000A505
	v_readlane_b32 s82, v3, 9                                  // 000000005B30: D2890052 00011303
	s_lshr_b32 s61, s82, 24                                    // 000000005B38: 8F3D9852
	s_and_b32 s82, s82, 0xffffff                               // 000000005B3C: 8652FF52 00FFFFFF
	s_mul_i32 s82, s82, s71                                    // 000000005B44: 92524752
	s_mul_i32 s61, s60, s61                                    // 000000005B48: 923D3D3C
	s_add_u32 s82, s82, s61                                    // 000000005B4C: 80523D52
	v_mul_lo_u32 v7, v4, s82                                   // 000000005B50: D2850007 0000A504
	v_add_u32_e32 v62, v6, v7                                  // 000000005B58: 687C0F06
	v_readlane_b32 s82, v3, 10                                 // 000000005B5C: D2890052 00011503
	s_lshr_b32 s61, s82, 24                                    // 000000005B64: 8F3D9852
	s_and_b32 s82, s82, 0xffffff                               // 000000005B68: 8652FF52 00FFFFFF
	s_mul_i32 s82, s82, s71                                    // 000000005B70: 92524752
	s_mul_i32 s61, s60, s61                                    // 000000005B74: 923D3D3C
	s_add_u32 s82, s82, s61                                    // 000000005B78: 80523D52
	v_mul_lo_u32 v6, v5, s82                                   // 000000005B7C: D2850006 0000A505
	v_readlane_b32 s82, v3, 11                                 // 000000005B84: D2890052 00011703
	s_lshr_b32 s61, s82, 24                                    // 000000005B8C: 8F3D9852
	s_and_b32 s82, s82, 0xffffff                               // 000000005B90: 8652FF52 00FFFFFF
	s_mul_i32 s82, s82, s71                                    // 000000005B98: 92524752
	s_mul_i32 s61, s60, s61                                    // 000000005B9C: 923D3D3C
	s_add_u32 s82, s82, s61                                    // 000000005BA0: 80523D52
	v_mul_lo_u32 v7, v4, s82                                   // 000000005BA4: D2850007 0000A504
	v_add_u32_e32 v63, v6, v7                                  // 000000005BAC: 687E0F06
	v_readlane_b32 s82, v3, 12                                 // 000000005BB0: D2890052 00011903
	s_lshr_b32 s61, s82, 24                                    // 000000005BB8: 8F3D9852
	s_and_b32 s82, s82, 0xffffff                               // 000000005BBC: 8652FF52 00FFFFFF
	s_mul_i32 s82, s82, s71                                    // 000000005BC4: 92524752
	s_mul_i32 s61, s60, s61                                    // 000000005BC8: 923D3D3C
	s_add_u32 s82, s82, s61                                    // 000000005BCC: 80523D52
	v_mul_lo_u32 v6, v5, s82                                   // 000000005BD0: D2850006 0000A505
	v_readlane_b32 s82, v3, 13                                 // 000000005BD8: D2890052 00011B03
	s_lshr_b32 s61, s82, 24                                    // 000000005BE0: 8F3D9852
	s_and_b32 s82, s82, 0xffffff                               // 000000005BE4: 8652FF52 00FFFFFF
	s_mul_i32 s82, s82, s71                                    // 000000005BEC: 92524752
	s_mul_i32 s61, s60, s61                                    // 000000005BF0: 923D3D3C
	s_add_u32 s82, s82, s61                                    // 000000005BF4: 80523D52
	v_mul_lo_u32 v7, v4, s82                                   // 000000005BF8: D2850007 0000A504
	v_add_u32_e32 v64, v6, v7                                  // 000000005C00: 68800F06
	v_readlane_b32 s82, v3, 14                                 // 000000005C04: D2890052 00011D03
	s_lshr_b32 s61, s82, 24                                    // 000000005C0C: 8F3D9852
	s_and_b32 s82, s82, 0xffffff                               // 000000005C10: 8652FF52 00FFFFFF
	s_mul_i32 s82, s82, s71                                    // 000000005C18: 92524752
	s_mul_i32 s61, s60, s61                                    // 000000005C1C: 923D3D3C
	s_add_u32 s82, s82, s61                                    // 000000005C20: 80523D52
	v_mul_lo_u32 v6, v5, s82                                   // 000000005C24: D2850006 0000A505
	v_readlane_b32 s82, v3, 15                                 // 000000005C2C: D2890052 00011F03
	s_lshr_b32 s61, s82, 24                                    // 000000005C34: 8F3D9852
	s_and_b32 s82, s82, 0xffffff                               // 000000005C38: 8652FF52 00FFFFFF
	s_mul_i32 s82, s82, s71                                    // 000000005C40: 92524752
	s_mul_i32 s61, s60, s61                                    // 000000005C44: 923D3D3C
	s_add_u32 s82, s82, s61                                    // 000000005C48: 80523D52
	v_mul_lo_u32 v7, v4, s82                                   // 000000005C4C: D2850007 0000A504
	v_add_u32_e32 v65, v6, v7                                  // 000000005C54: 68820F06
	v_readlane_b32 s82, v3, 16                                 // 000000005C58: D2890052 00012103
	s_lshr_b32 s61, s82, 24                                    // 000000005C60: 8F3D9852
	s_and_b32 s82, s82, 0xffffff                               // 000000005C64: 8652FF52 00FFFFFF
	s_mul_i32 s82, s82, s71                                    // 000000005C6C: 92524752
	s_mul_i32 s61, s60, s61                                    // 000000005C70: 923D3D3C
	s_add_u32 s82, s82, s61                                    // 000000005C74: 80523D52
	v_mul_lo_u32 v6, v5, s82                                   // 000000005C78: D2850006 0000A505
	v_readlane_b32 s82, v3, 17                                 // 000000005C80: D2890052 00012303
	s_lshr_b32 s61, s82, 24                                    // 000000005C88: 8F3D9852
	s_and_b32 s82, s82, 0xffffff                               // 000000005C8C: 8652FF52 00FFFFFF
	s_mul_i32 s82, s82, s71                                    // 000000005C94: 92524752
	s_mul_i32 s61, s60, s61                                    // 000000005C98: 923D3D3C
	s_add_u32 s82, s82, s61                                    // 000000005C9C: 80523D52
	v_mul_lo_u32 v7, v4, s82                                   // 000000005CA0: D2850007 0000A504
	v_add_u32_e32 v66, v6, v7                                  // 000000005CA8: 68840F06
	v_readlane_b32 s82, v3, 18                                 // 000000005CAC: D2890052 00012503
	s_lshr_b32 s61, s82, 24                                    // 000000005CB4: 8F3D9852
	s_and_b32 s82, s82, 0xffffff                               // 000000005CB8: 8652FF52 00FFFFFF
	s_mul_i32 s82, s82, s71                                    // 000000005CC0: 92524752
	s_mul_i32 s61, s60, s61                                    // 000000005CC4: 923D3D3C
	s_add_u32 s82, s82, s61                                    // 000000005CC8: 80523D52
	v_mul_lo_u32 v6, v5, s82                                   // 000000005CCC: D2850006 0000A505
	v_readlane_b32 s82, v3, 19                                 // 000000005CD4: D2890052 00012703
	s_lshr_b32 s61, s82, 24                                    // 000000005CDC: 8F3D9852
	s_and_b32 s82, s82, 0xffffff                               // 000000005CE0: 8652FF52 00FFFFFF
	s_mul_i32 s82, s82, s71                                    // 000000005CE8: 92524752
	s_mul_i32 s61, s60, s61                                    // 000000005CEC: 923D3D3C
	s_add_u32 s82, s82, s61                                    // 000000005CF0: 80523D52
	v_mul_lo_u32 v7, v4, s82                                   // 000000005CF4: D2850007 0000A504
	v_add_u32_e32 v67, v6, v7                                  // 000000005CFC: 68860F06
	v_readlane_b32 s82, v3, 20                                 // 000000005D00: D2890052 00012903
	s_lshr_b32 s61, s82, 24                                    // 000000005D08: 8F3D9852
	s_and_b32 s82, s82, 0xffffff                               // 000000005D0C: 8652FF52 00FFFFFF
	s_mul_i32 s82, s82, s71                                    // 000000005D14: 92524752
	s_mul_i32 s61, s60, s61                                    // 000000005D18: 923D3D3C
	s_add_u32 s82, s82, s61                                    // 000000005D1C: 80523D52
	v_mul_lo_u32 v6, v5, s82                                   // 000000005D20: D2850006 0000A505
	v_readlane_b32 s82, v3, 21                                 // 000000005D28: D2890052 00012B03
	s_lshr_b32 s61, s82, 24                                    // 000000005D30: 8F3D9852
	s_and_b32 s82, s82, 0xffffff                               // 000000005D34: 8652FF52 00FFFFFF
	s_mul_i32 s82, s82, s71                                    // 000000005D3C: 92524752
	s_mul_i32 s61, s60, s61                                    // 000000005D40: 923D3D3C
	s_add_u32 s82, s82, s61                                    // 000000005D44: 80523D52
	v_mul_lo_u32 v7, v4, s82                                   // 000000005D48: D2850007 0000A504
	v_add_u32_e32 v68, v6, v7                                  // 000000005D50: 68880F06
	v_readlane_b32 s82, v3, 22                                 // 000000005D54: D2890052 00012D03
	s_lshr_b32 s61, s82, 24                                    // 000000005D5C: 8F3D9852
	s_and_b32 s82, s82, 0xffffff                               // 000000005D60: 8652FF52 00FFFFFF
	s_mul_i32 s82, s82, s71                                    // 000000005D68: 92524752
	s_mul_i32 s61, s60, s61                                    // 000000005D6C: 923D3D3C
	s_add_u32 s82, s82, s61                                    // 000000005D70: 80523D52
	v_mul_lo_u32 v6, v5, s82                                   // 000000005D74: D2850006 0000A505
	v_readlane_b32 s82, v3, 23                                 // 000000005D7C: D2890052 00012F03
	s_lshr_b32 s61, s82, 24                                    // 000000005D84: 8F3D9852
	s_and_b32 s82, s82, 0xffffff                               // 000000005D88: 8652FF52 00FFFFFF
	s_mul_i32 s82, s82, s71                                    // 000000005D90: 92524752
	s_mul_i32 s61, s60, s61                                    // 000000005D94: 923D3D3C
	s_add_u32 s82, s82, s61                                    // 000000005D98: 80523D52
	v_mul_lo_u32 v7, v4, s82                                   // 000000005D9C: D2850007 0000A504
	v_add_u32_e32 v69, v6, v7                                  // 000000005DA4: 688A0F06
	v_readlane_b32 s82, v3, 24                                 // 000000005DA8: D2890052 00013103
	s_lshr_b32 s61, s82, 24                                    // 000000005DB0: 8F3D9852
	s_and_b32 s82, s82, 0xffffff                               // 000000005DB4: 8652FF52 00FFFFFF
	s_mul_i32 s82, s82, s71                                    // 000000005DBC: 92524752
	s_mul_i32 s61, s60, s61                                    // 000000005DC0: 923D3D3C
	s_add_u32 s82, s82, s61                                    // 000000005DC4: 80523D52
	v_mul_lo_u32 v6, v5, s82                                   // 000000005DC8: D2850006 0000A505
	v_readlane_b32 s82, v3, 25                                 // 000000005DD0: D2890052 00013303
	s_lshr_b32 s61, s82, 24                                    // 000000005DD8: 8F3D9852
	s_and_b32 s82, s82, 0xffffff                               // 000000005DDC: 8652FF52 00FFFFFF
	s_mul_i32 s82, s82, s71                                    // 000000005DE4: 92524752
	s_mul_i32 s61, s60, s61                                    // 000000005DE8: 923D3D3C
	s_add_u32 s82, s82, s61                                    // 000000005DEC: 80523D52
	v_mul_lo_u32 v7, v4, s82                                   // 000000005DF0: D2850007 0000A504
	v_add_u32_e32 v70, v6, v7                                  // 000000005DF8: 688C0F06
	v_readlane_b32 s82, v3, 26                                 // 000000005DFC: D2890052 00013503
	s_lshr_b32 s61, s82, 24                                    // 000000005E04: 8F3D9852
	s_and_b32 s82, s82, 0xffffff                               // 000000005E08: 8652FF52 00FFFFFF
	s_mul_i32 s82, s82, s71                                    // 000000005E10: 92524752
	s_mul_i32 s61, s60, s61                                    // 000000005E14: 923D3D3C
	s_add_u32 s82, s82, s61                                    // 000000005E18: 80523D52
	v_mul_lo_u32 v6, v5, s82                                   // 000000005E1C: D2850006 0000A505
	v_readlane_b32 s82, v3, 27                                 // 000000005E24: D2890052 00013703
	s_lshr_b32 s61, s82, 24                                    // 000000005E2C: 8F3D9852
	s_and_b32 s82, s82, 0xffffff                               // 000000005E30: 8652FF52 00FFFFFF
	s_mul_i32 s82, s82, s71                                    // 000000005E38: 92524752
	s_mul_i32 s61, s60, s61                                    // 000000005E3C: 923D3D3C
	s_add_u32 s82, s82, s61                                    // 000000005E40: 80523D52
	v_mul_lo_u32 v7, v4, s82                                   // 000000005E44: D2850007 0000A504
	v_add_u32_e32 v71, v6, v7                                  // 000000005E4C: 688E0F06
	v_and_b32_e32 v4, 31, v0                                   // 000000005E50: 2608009F
	v_lshrrev_b32_e32 v4, 1, v4                                // 000000005E54: 20080881
	s_cmp_eq_u32 s88, 0                                        // 000000005E58: BF068058
	s_cselect_b32 s61, 2, 4                                    // 000000005E5C: 853D8482
	v_mul_lo_u32 v4, v4, s61                                   // 000000005E60: D2850004 00007B04
	v_and_b32_e64 v5, v0, 1                                    // 000000005E68: D1130005 00010300
	v_add_u32_e32 v4, v4, v5                                   // 000000005E70: 68080B04
	v_lshlrev_b32_e32 v4, 2, v4                                // 000000005E74: 24080882
	v_add_u32_e32 v58, v58, v4                                 // 000000005E78: 6874093A
	v_add_u32_e32 v59, v59, v4                                 // 000000005E7C: 6876093B
	v_add_u32_e32 v60, v60, v4                                 // 000000005E80: 6878093C
	v_add_u32_e32 v61, v61, v4                                 // 000000005E84: 687A093D
	v_add_u32_e32 v62, v62, v4                                 // 000000005E88: 687C093E
	v_add_u32_e32 v63, v63, v4                                 // 000000005E8C: 687E093F
	v_add_u32_e32 v64, v64, v4                                 // 000000005E90: 68800940
	v_add_u32_e32 v65, v65, v4                                 // 000000005E94: 68820941
	v_add_u32_e32 v66, v66, v4                                 // 000000005E98: 68840942
	v_add_u32_e32 v67, v67, v4                                 // 000000005E9C: 68860943
	v_add_u32_e32 v68, v68, v4                                 // 000000005EA0: 68880944
	v_add_u32_e32 v69, v69, v4                                 // 000000005EA4: 688A0945
	v_add_u32_e32 v70, v70, v4                                 // 000000005EA8: 688C0946
	v_add_u32_e32 v71, v71, v4                                 // 000000005EAC: 688E0947
	s_waitcnt lgkmcnt(0)                                       // 000000005EB0: BF8CC07F
	s_barrier                                                  // 000000005EB4: BF8A0000
	ds_read_b32 v76, v21                                       // 000000005EB8: D86C0000 4C000015
	ds_read_b32 v77, v21 offset:64                             // 000000005EC0: D86C0040 4D000015
	ds_read_b32 v78, v21 offset:2176                           // 000000005EC8: D86C0880 4E000015
	ds_read_b32 v79, v21 offset:2240                           // 000000005ED0: D86C08C0 4F000015
	ds_read_b32 v80, v21 offset:4352                           // 000000005ED8: D86C1100 50000015
	ds_read_b32 v81, v21 offset:4416                           // 000000005EE0: D86C1140 51000015
	ds_read_b32 v82, v21 offset:6528                           // 000000005EE8: D86C1980 52000015
	ds_read_b32 v83, v21 offset:6592                           // 000000005EF0: D86C19C0 53000015
	ds_read_b32 v84, v21 offset:8704                           // 000000005EF8: D86C2200 54000015
	ds_read_b32 v85, v21 offset:8768                           // 000000005F00: D86C2240 55000015
	ds_read_b32 v86, v21 offset:10880                          // 000000005F08: D86C2A80 56000015
	ds_read_b32 v87, v21 offset:10944                          // 000000005F10: D86C2AC0 57000015
	ds_read_b32 v88, v21 offset:13056                          // 000000005F18: D86C3300 58000015
	ds_read_b32 v89, v21 offset:13120                          // 000000005F20: D86C3340 59000015
	s_waitcnt lgkmcnt(0)                                       // 000000005F28: BF8CC07F
	s_mov_b32 s36, -1                                          // 000000005F2C: BEA400C1
	s_mov_b32 s37, -1                                          // 000000005F30: BEA500C1
	v_mov_b32_e32 v7, 0                                        // 000000005F34: 7E0E0280
	s_or_b32 s9, s9, 0x40000                                   // 000000005F38: 8709FF09 00040000
	s_mov_b64 exec, s[36:37]                                   // 000000005F40: BEFE0124
	v_mov_b32_e32 v6, v58                                      // 000000005F44: 7E0C033A
	s_mov_b64 s[60:61], 0                                      // 000000005F48: BEBC0180
	v_readlane_b32 s82, v3, 0                                  // 000000005F4C: D2890052 00010103
	s_and_b32 s82, s82, 0xffffff                               // 000000005F54: 8652FF52 00FFFFFF
	s_cmp_lt_u32 s82, s66                                      // 000000005F5C: BF0A4252
	s_cselect_b32 s20, s36, s60                                // 000000005F60: 85143C24
	v_readlane_b32 s82, v3, 1                                  // 000000005F64: D2890052 00010303
	s_and_b32 s82, s82, 0xffffff                               // 000000005F6C: 8652FF52 00FFFFFF
	s_cmp_lt_u32 s82, s66                                      // 000000005F74: BF0A4252
	s_cselect_b32 s21, s36, s60                                // 000000005F78: 85153C24
	s_mov_b64 exec, s[20:21]                                   // 000000005F7C: BEFE0114
	buffer_store_dword v76, v6, s[8:11], 0 offen               // 000000005F80: E0701000 80024C06
	s_mov_b64 exec, s[36:37]                                   // 000000005F88: BEFE0124
	v_mov_b32_e32 v6, v59                                      // 000000005F8C: 7E0C033B
	s_mov_b64 s[60:61], 0                                      // 000000005F90: BEBC0180
	v_readlane_b32 s82, v3, 2                                  // 000000005F94: D2890052 00010503
	s_and_b32 s82, s82, 0xffffff                               // 000000005F9C: 8652FF52 00FFFFFF
	s_cmp_lt_u32 s82, s66                                      // 000000005FA4: BF0A4252
	s_cselect_b32 s20, s36, s60                                // 000000005FA8: 85143C24
	v_readlane_b32 s82, v3, 3                                  // 000000005FAC: D2890052 00010703
	s_and_b32 s82, s82, 0xffffff                               // 000000005FB4: 8652FF52 00FFFFFF
	s_cmp_lt_u32 s82, s66                                      // 000000005FBC: BF0A4252
	s_cselect_b32 s21, s36, s60                                // 000000005FC0: 85153C24
	s_mov_b64 exec, s[20:21]                                   // 000000005FC4: BEFE0114
	buffer_store_dword v77, v6, s[8:11], 0 offen               // 000000005FC8: E0701000 80024D06
	s_mov_b64 exec, s[36:37]                                   // 000000005FD0: BEFE0124
	v_mov_b32_e32 v6, v60                                      // 000000005FD4: 7E0C033C
	s_mov_b64 s[60:61], 0                                      // 000000005FD8: BEBC0180
	v_readlane_b32 s82, v3, 4                                  // 000000005FDC: D2890052 00010903
	s_and_b32 s82, s82, 0xffffff                               // 000000005FE4: 8652FF52 00FFFFFF
	s_cmp_lt_u32 s82, s66                                      // 000000005FEC: BF0A4252
	s_cselect_b32 s20, s36, s60                                // 000000005FF0: 85143C24
	v_readlane_b32 s82, v3, 5                                  // 000000005FF4: D2890052 00010B03
	s_and_b32 s82, s82, 0xffffff                               // 000000005FFC: 8652FF52 00FFFFFF
	s_cmp_lt_u32 s82, s66                                      // 000000006004: BF0A4252
	s_cselect_b32 s21, s36, s60                                // 000000006008: 85153C24
	s_mov_b64 exec, s[20:21]                                   // 00000000600C: BEFE0114
	buffer_store_dword v78, v6, s[8:11], 0 offen               // 000000006010: E0701000 80024E06
	s_mov_b64 exec, s[36:37]                                   // 000000006018: BEFE0124
	v_mov_b32_e32 v6, v61                                      // 00000000601C: 7E0C033D
	s_mov_b64 s[60:61], 0                                      // 000000006020: BEBC0180
	v_readlane_b32 s82, v3, 6                                  // 000000006024: D2890052 00010D03
	s_and_b32 s82, s82, 0xffffff                               // 00000000602C: 8652FF52 00FFFFFF
	s_cmp_lt_u32 s82, s66                                      // 000000006034: BF0A4252
	s_cselect_b32 s20, s36, s60                                // 000000006038: 85143C24
	v_readlane_b32 s82, v3, 7                                  // 00000000603C: D2890052 00010F03
	s_and_b32 s82, s82, 0xffffff                               // 000000006044: 8652FF52 00FFFFFF
	s_cmp_lt_u32 s82, s66                                      // 00000000604C: BF0A4252
	s_cselect_b32 s21, s36, s60                                // 000000006050: 85153C24
	s_mov_b64 exec, s[20:21]                                   // 000000006054: BEFE0114
	buffer_store_dword v79, v6, s[8:11], 0 offen               // 000000006058: E0701000 80024F06
	s_mov_b64 exec, s[36:37]                                   // 000000006060: BEFE0124
	v_mov_b32_e32 v6, v62                                      // 000000006064: 7E0C033E
	s_mov_b64 s[60:61], 0                                      // 000000006068: BEBC0180
	v_readlane_b32 s82, v3, 8                                  // 00000000606C: D2890052 00011103
	s_and_b32 s82, s82, 0xffffff                               // 000000006074: 8652FF52 00FFFFFF
	s_cmp_lt_u32 s82, s66                                      // 00000000607C: BF0A4252
	s_cselect_b32 s20, s36, s60                                // 000000006080: 85143C24
	v_readlane_b32 s82, v3, 9                                  // 000000006084: D2890052 00011303
	s_and_b32 s82, s82, 0xffffff                               // 00000000608C: 8652FF52 00FFFFFF
	s_cmp_lt_u32 s82, s66                                      // 000000006094: BF0A4252
	s_cselect_b32 s21, s36, s60                                // 000000006098: 85153C24
	s_mov_b64 exec, s[20:21]                                   // 00000000609C: BEFE0114
	buffer_store_dword v80, v6, s[8:11], 0 offen               // 0000000060A0: E0701000 80025006
	s_mov_b64 exec, s[36:37]                                   // 0000000060A8: BEFE0124
	v_mov_b32_e32 v6, v63                                      // 0000000060AC: 7E0C033F
	s_mov_b64 s[60:61], 0                                      // 0000000060B0: BEBC0180
	v_readlane_b32 s82, v3, 10                                 // 0000000060B4: D2890052 00011503
	s_and_b32 s82, s82, 0xffffff                               // 0000000060BC: 8652FF52 00FFFFFF
	s_cmp_lt_u32 s82, s66                                      // 0000000060C4: BF0A4252
	s_cselect_b32 s20, s36, s60                                // 0000000060C8: 85143C24
	v_readlane_b32 s82, v3, 11                                 // 0000000060CC: D2890052 00011703
	s_and_b32 s82, s82, 0xffffff                               // 0000000060D4: 8652FF52 00FFFFFF
	s_cmp_lt_u32 s82, s66                                      // 0000000060DC: BF0A4252
	s_cselect_b32 s21, s36, s60                                // 0000000060E0: 85153C24
	s_mov_b64 exec, s[20:21]                                   // 0000000060E4: BEFE0114
	buffer_store_dword v81, v6, s[8:11], 0 offen               // 0000000060E8: E0701000 80025106
	s_mov_b64 exec, s[36:37]                                   // 0000000060F0: BEFE0124
	v_mov_b32_e32 v6, v64                                      // 0000000060F4: 7E0C0340
	s_mov_b64 s[60:61], 0                                      // 0000000060F8: BEBC0180
	v_readlane_b32 s82, v3, 12                                 // 0000000060FC: D2890052 00011903
	s_and_b32 s82, s82, 0xffffff                               // 000000006104: 8652FF52 00FFFFFF
	s_cmp_lt_u32 s82, s66                                      // 00000000610C: BF0A4252
	s_cselect_b32 s20, s36, s60                                // 000000006110: 85143C24
	v_readlane_b32 s82, v3, 13                                 // 000000006114: D2890052 00011B03
	s_and_b32 s82, s82, 0xffffff                               // 00000000611C: 8652FF52 00FFFFFF
	s_cmp_lt_u32 s82, s66                                      // 000000006124: BF0A4252
	s_cselect_b32 s21, s36, s60                                // 000000006128: 85153C24
	s_mov_b64 exec, s[20:21]                                   // 00000000612C: BEFE0114
	buffer_store_dword v82, v6, s[8:11], 0 offen               // 000000006130: E0701000 80025206
	s_mov_b64 exec, s[36:37]                                   // 000000006138: BEFE0124
	v_mov_b32_e32 v6, v65                                      // 00000000613C: 7E0C0341
	s_mov_b64 s[60:61], 0                                      // 000000006140: BEBC0180
	v_readlane_b32 s82, v3, 14                                 // 000000006144: D2890052 00011D03
	s_and_b32 s82, s82, 0xffffff                               // 00000000614C: 8652FF52 00FFFFFF
	s_cmp_lt_u32 s82, s66                                      // 000000006154: BF0A4252
	s_cselect_b32 s20, s36, s60                                // 000000006158: 85143C24
	v_readlane_b32 s82, v3, 15                                 // 00000000615C: D2890052 00011F03
	s_and_b32 s82, s82, 0xffffff                               // 000000006164: 8652FF52 00FFFFFF
	s_cmp_lt_u32 s82, s66                                      // 00000000616C: BF0A4252
	s_cselect_b32 s21, s36, s60                                // 000000006170: 85153C24
	s_mov_b64 exec, s[20:21]                                   // 000000006174: BEFE0114
	buffer_store_dword v83, v6, s[8:11], 0 offen               // 000000006178: E0701000 80025306
	s_mov_b64 exec, s[36:37]                                   // 000000006180: BEFE0124
	v_mov_b32_e32 v6, v66                                      // 000000006184: 7E0C0342
	s_mov_b64 s[60:61], 0                                      // 000000006188: BEBC0180
	v_readlane_b32 s82, v3, 16                                 // 00000000618C: D2890052 00012103
	s_and_b32 s82, s82, 0xffffff                               // 000000006194: 8652FF52 00FFFFFF
	s_cmp_lt_u32 s82, s66                                      // 00000000619C: BF0A4252
	s_cselect_b32 s20, s36, s60                                // 0000000061A0: 85143C24
	v_readlane_b32 s82, v3, 17                                 // 0000000061A4: D2890052 00012303
	s_and_b32 s82, s82, 0xffffff                               // 0000000061AC: 8652FF52 00FFFFFF
	s_cmp_lt_u32 s82, s66                                      // 0000000061B4: BF0A4252
	s_cselect_b32 s21, s36, s60                                // 0000000061B8: 85153C24
	s_mov_b64 exec, s[20:21]                                   // 0000000061BC: BEFE0114
	buffer_store_dword v84, v6, s[8:11], 0 offen               // 0000000061C0: E0701000 80025406
	s_mov_b64 exec, s[36:37]                                   // 0000000061C8: BEFE0124
	v_mov_b32_e32 v6, v67                                      // 0000000061CC: 7E0C0343
	s_mov_b64 s[60:61], 0                                      // 0000000061D0: BEBC0180
	v_readlane_b32 s82, v3, 18                                 // 0000000061D4: D2890052 00012503
	s_and_b32 s82, s82, 0xffffff                               // 0000000061DC: 8652FF52 00FFFFFF
	s_cmp_lt_u32 s82, s66                                      // 0000000061E4: BF0A4252
	s_cselect_b32 s20, s36, s60                                // 0000000061E8: 85143C24
	v_readlane_b32 s82, v3, 19                                 // 0000000061EC: D2890052 00012703
	s_and_b32 s82, s82, 0xffffff                               // 0000000061F4: 8652FF52 00FFFFFF
	s_cmp_lt_u32 s82, s66                                      // 0000000061FC: BF0A4252
	s_cselect_b32 s21, s36, s60                                // 000000006200: 85153C24
	s_mov_b64 exec, s[20:21]                                   // 000000006204: BEFE0114
	buffer_store_dword v85, v6, s[8:11], 0 offen               // 000000006208: E0701000 80025506
	s_mov_b64 exec, s[36:37]                                   // 000000006210: BEFE0124
	v_mov_b32_e32 v6, v68                                      // 000000006214: 7E0C0344
	s_mov_b64 s[60:61], 0                                      // 000000006218: BEBC0180
	v_readlane_b32 s82, v3, 20                                 // 00000000621C: D2890052 00012903
	s_and_b32 s82, s82, 0xffffff                               // 000000006224: 8652FF52 00FFFFFF
	s_cmp_lt_u32 s82, s66                                      // 00000000622C: BF0A4252
	s_cselect_b32 s20, s36, s60                                // 000000006230: 85143C24
	v_readlane_b32 s82, v3, 21                                 // 000000006234: D2890052 00012B03
	s_and_b32 s82, s82, 0xffffff                               // 00000000623C: 8652FF52 00FFFFFF
	s_cmp_lt_u32 s82, s66                                      // 000000006244: BF0A4252
	s_cselect_b32 s21, s36, s60                                // 000000006248: 85153C24
	s_mov_b64 exec, s[20:21]                                   // 00000000624C: BEFE0114
	buffer_store_dword v86, v6, s[8:11], 0 offen               // 000000006250: E0701000 80025606
	s_mov_b64 exec, s[36:37]                                   // 000000006258: BEFE0124
	v_mov_b32_e32 v6, v69                                      // 00000000625C: 7E0C0345
	s_mov_b64 s[60:61], 0                                      // 000000006260: BEBC0180
	v_readlane_b32 s82, v3, 22                                 // 000000006264: D2890052 00012D03
	s_and_b32 s82, s82, 0xffffff                               // 00000000626C: 8652FF52 00FFFFFF
	s_cmp_lt_u32 s82, s66                                      // 000000006274: BF0A4252
	s_cselect_b32 s20, s36, s60                                // 000000006278: 85143C24
	v_readlane_b32 s82, v3, 23                                 // 00000000627C: D2890052 00012F03
	s_and_b32 s82, s82, 0xffffff                               // 000000006284: 8652FF52 00FFFFFF
	s_cmp_lt_u32 s82, s66                                      // 00000000628C: BF0A4252
	s_cselect_b32 s21, s36, s60                                // 000000006290: 85153C24
	s_mov_b64 exec, s[20:21]                                   // 000000006294: BEFE0114
	buffer_store_dword v87, v6, s[8:11], 0 offen               // 000000006298: E0701000 80025706
	s_mov_b64 exec, s[36:37]                                   // 0000000062A0: BEFE0124
	v_mov_b32_e32 v6, v70                                      // 0000000062A4: 7E0C0346
	s_mov_b64 s[60:61], 0                                      // 0000000062A8: BEBC0180
	v_readlane_b32 s82, v3, 24                                 // 0000000062AC: D2890052 00013103
	s_and_b32 s82, s82, 0xffffff                               // 0000000062B4: 8652FF52 00FFFFFF
	s_cmp_lt_u32 s82, s66                                      // 0000000062BC: BF0A4252
	s_cselect_b32 s20, s36, s60                                // 0000000062C0: 85143C24
	v_readlane_b32 s82, v3, 25                                 // 0000000062C4: D2890052 00013303
	s_and_b32 s82, s82, 0xffffff                               // 0000000062CC: 8652FF52 00FFFFFF
	s_cmp_lt_u32 s82, s66                                      // 0000000062D4: BF0A4252
	s_cselect_b32 s21, s36, s60                                // 0000000062D8: 85153C24
	s_mov_b64 exec, s[20:21]                                   // 0000000062DC: BEFE0114
	buffer_store_dword v88, v6, s[8:11], 0 offen               // 0000000062E0: E0701000 80025806
	s_mov_b64 exec, s[36:37]                                   // 0000000062E8: BEFE0124
	v_mov_b32_e32 v6, v71                                      // 0000000062EC: 7E0C0347
	s_mov_b64 s[60:61], 0                                      // 0000000062F0: BEBC0180
	v_readlane_b32 s82, v3, 26                                 // 0000000062F4: D2890052 00013503
	s_and_b32 s82, s82, 0xffffff                               // 0000000062FC: 8652FF52 00FFFFFF
	s_cmp_lt_u32 s82, s66                                      // 000000006304: BF0A4252
	s_cselect_b32 s20, s36, s60                                // 000000006308: 85143C24
	v_readlane_b32 s82, v3, 27                                 // 00000000630C: D2890052 00013703
	s_and_b32 s82, s82, 0xffffff                               // 000000006314: 8652FF52 00FFFFFF
	s_cmp_lt_u32 s82, s66                                      // 00000000631C: BF0A4252
	s_cselect_b32 s21, s36, s60                                // 000000006320: 85153C24
	s_mov_b64 exec, s[20:21]                                   // 000000006324: BEFE0114
	buffer_store_dword v89, v6, s[8:11], 0 offen               // 000000006328: E0701000 80025906
	s_mov_b64 exec, s[36:37]                                   // 000000006330: BEFE0124
	s_branch label_257F                                        // 000000006334: BF82172E

0000000000006338 <label_0E4E>:
	ds_write_b64 v20, v[76:77]                                 // 000000006338: D89A0000 00004C14
	ds_write_b64 v20, v[80:81] offset:2176                     // 000000006340: D89A0880 00005014
	ds_write_b64 v20, v[84:85] offset:4352                     // 000000006348: D89A1100 00005414
	ds_write_b64 v20, v[88:89] offset:6528                     // 000000006350: D89A1980 00005814
	ds_write_b64 v20, v[92:93] offset:8704                     // 000000006358: D89A2200 00005C14
	ds_write_b64 v20, v[96:97] offset:10880                    // 000000006360: D89A2A80 00006014
	ds_write_b64 v20, v[100:101] offset:13056                  // 000000006368: D89A3300 00006414
	v_lshrrev_b32_e32 v4, 5, v0                                // 000000006370: 20080085
	v_xor_b32_e32 v5, 1, v4                                    // 000000006374: 2A0A0881
	s_mul_i32 s60, s65, 2                                      // 000000006378: 923C8241
	s_cmp_eq_u32 s88, 0                                        // 00000000637C: BF068058
	s_cselect_b32 s61, 1, 4                                    // 000000006380: 853D8481
	s_mul_i32 s60, s61, s60                                    // 000000006384: 923C3C3D
	v_readlane_b32 s82, v3, 0                                  // 000000006388: D2890052 00010103
	s_lshr_b32 s61, s82, 24                                    // 000000006390: 8F3D9852
	s_and_b32 s82, s82, 0xffffff                               // 000000006394: 8652FF52 00FFFFFF
	s_mul_i32 s82, s82, s71                                    // 00000000639C: 92524752
	s_mul_i32 s61, s60, s61                                    // 0000000063A0: 923D3D3C
	s_add_u32 s82, s82, s61                                    // 0000000063A4: 80523D52
	v_mul_lo_u32 v6, v5, s82                                   // 0000000063A8: D2850006 0000A505
	v_readlane_b32 s82, v3, 1                                  // 0000000063B0: D2890052 00010303
	s_lshr_b32 s61, s82, 24                                    // 0000000063B8: 8F3D9852
	s_and_b32 s82, s82, 0xffffff                               // 0000000063BC: 8652FF52 00FFFFFF
	s_mul_i32 s82, s82, s71                                    // 0000000063C4: 92524752
	s_mul_i32 s61, s60, s61                                    // 0000000063C8: 923D3D3C
	s_add_u32 s82, s82, s61                                    // 0000000063CC: 80523D52
	v_mul_lo_u32 v7, v4, s82                                   // 0000000063D0: D2850007 0000A504
	v_add_u32_e32 v58, v6, v7                                  // 0000000063D8: 68740F06
	v_readlane_b32 s82, v3, 2                                  // 0000000063DC: D2890052 00010503
	s_lshr_b32 s61, s82, 24                                    // 0000000063E4: 8F3D9852
	s_and_b32 s82, s82, 0xffffff                               // 0000000063E8: 8652FF52 00FFFFFF
	s_mul_i32 s82, s82, s71                                    // 0000000063F0: 92524752
	s_mul_i32 s61, s60, s61                                    // 0000000063F4: 923D3D3C
	s_add_u32 s82, s82, s61                                    // 0000000063F8: 80523D52
	v_mul_lo_u32 v6, v5, s82                                   // 0000000063FC: D2850006 0000A505
	v_readlane_b32 s82, v3, 3                                  // 000000006404: D2890052 00010703
	s_lshr_b32 s61, s82, 24                                    // 00000000640C: 8F3D9852
	s_and_b32 s82, s82, 0xffffff                               // 000000006410: 8652FF52 00FFFFFF
	s_mul_i32 s82, s82, s71                                    // 000000006418: 92524752
	s_mul_i32 s61, s60, s61                                    // 00000000641C: 923D3D3C
	s_add_u32 s82, s82, s61                                    // 000000006420: 80523D52
	v_mul_lo_u32 v7, v4, s82                                   // 000000006424: D2850007 0000A504
	v_add_u32_e32 v59, v6, v7                                  // 00000000642C: 68760F06
	v_readlane_b32 s82, v3, 4                                  // 000000006430: D2890052 00010903
	s_lshr_b32 s61, s82, 24                                    // 000000006438: 8F3D9852
	s_and_b32 s82, s82, 0xffffff                               // 00000000643C: 8652FF52 00FFFFFF
	s_mul_i32 s82, s82, s71                                    // 000000006444: 92524752
	s_mul_i32 s61, s60, s61                                    // 000000006448: 923D3D3C
	s_add_u32 s82, s82, s61                                    // 00000000644C: 80523D52
	v_mul_lo_u32 v6, v5, s82                                   // 000000006450: D2850006 0000A505
	v_readlane_b32 s82, v3, 5                                  // 000000006458: D2890052 00010B03
	s_lshr_b32 s61, s82, 24                                    // 000000006460: 8F3D9852
	s_and_b32 s82, s82, 0xffffff                               // 000000006464: 8652FF52 00FFFFFF
	s_mul_i32 s82, s82, s71                                    // 00000000646C: 92524752
	s_mul_i32 s61, s60, s61                                    // 000000006470: 923D3D3C
	s_add_u32 s82, s82, s61                                    // 000000006474: 80523D52
	v_mul_lo_u32 v7, v4, s82                                   // 000000006478: D2850007 0000A504
	v_add_u32_e32 v60, v6, v7                                  // 000000006480: 68780F06
	v_readlane_b32 s82, v3, 6                                  // 000000006484: D2890052 00010D03
	s_lshr_b32 s61, s82, 24                                    // 00000000648C: 8F3D9852
	s_and_b32 s82, s82, 0xffffff                               // 000000006490: 8652FF52 00FFFFFF
	s_mul_i32 s82, s82, s71                                    // 000000006498: 92524752
	s_mul_i32 s61, s60, s61                                    // 00000000649C: 923D3D3C
	s_add_u32 s82, s82, s61                                    // 0000000064A0: 80523D52
	v_mul_lo_u32 v6, v5, s82                                   // 0000000064A4: D2850006 0000A505
	v_readlane_b32 s82, v3, 7                                  // 0000000064AC: D2890052 00010F03
	s_lshr_b32 s61, s82, 24                                    // 0000000064B4: 8F3D9852
	s_and_b32 s82, s82, 0xffffff                               // 0000000064B8: 8652FF52 00FFFFFF
	s_mul_i32 s82, s82, s71                                    // 0000000064C0: 92524752
	s_mul_i32 s61, s60, s61                                    // 0000000064C4: 923D3D3C
	s_add_u32 s82, s82, s61                                    // 0000000064C8: 80523D52
	v_mul_lo_u32 v7, v4, s82                                   // 0000000064CC: D2850007 0000A504
	v_add_u32_e32 v61, v6, v7                                  // 0000000064D4: 687A0F06
	v_readlane_b32 s82, v3, 8                                  // 0000000064D8: D2890052 00011103
	s_lshr_b32 s61, s82, 24                                    // 0000000064E0: 8F3D9852
	s_and_b32 s82, s82, 0xffffff                               // 0000000064E4: 8652FF52 00FFFFFF
	s_mul_i32 s82, s82, s71                                    // 0000000064EC: 92524752
	s_mul_i32 s61, s60, s61                                    // 0000000064F0: 923D3D3C
	s_add_u32 s82, s82, s61                                    // 0000000064F4: 80523D52
	v_mul_lo_u32 v6, v5, s82                                   // 0000000064F8: D2850006 0000A505
	v_readlane_b32 s82, v3, 9                                  // 000000006500: D2890052 00011303
	s_lshr_b32 s61, s82, 24                                    // 000000006508: 8F3D9852
	s_and_b32 s82, s82, 0xffffff                               // 00000000650C: 8652FF52 00FFFFFF
	s_mul_i32 s82, s82, s71                                    // 000000006514: 92524752
	s_mul_i32 s61, s60, s61                                    // 000000006518: 923D3D3C
	s_add_u32 s82, s82, s61                                    // 00000000651C: 80523D52
	v_mul_lo_u32 v7, v4, s82                                   // 000000006520: D2850007 0000A504
	v_add_u32_e32 v62, v6, v7                                  // 000000006528: 687C0F06
	v_readlane_b32 s82, v3, 10                                 // 00000000652C: D2890052 00011503
	s_lshr_b32 s61, s82, 24                                    // 000000006534: 8F3D9852
	s_and_b32 s82, s82, 0xffffff                               // 000000006538: 8652FF52 00FFFFFF
	s_mul_i32 s82, s82, s71                                    // 000000006540: 92524752
	s_mul_i32 s61, s60, s61                                    // 000000006544: 923D3D3C
	s_add_u32 s82, s82, s61                                    // 000000006548: 80523D52
	v_mul_lo_u32 v6, v5, s82                                   // 00000000654C: D2850006 0000A505
	v_readlane_b32 s82, v3, 11                                 // 000000006554: D2890052 00011703
	s_lshr_b32 s61, s82, 24                                    // 00000000655C: 8F3D9852
	s_and_b32 s82, s82, 0xffffff                               // 000000006560: 8652FF52 00FFFFFF
	s_mul_i32 s82, s82, s71                                    // 000000006568: 92524752
	s_mul_i32 s61, s60, s61                                    // 00000000656C: 923D3D3C
	s_add_u32 s82, s82, s61                                    // 000000006570: 80523D52
	v_mul_lo_u32 v7, v4, s82                                   // 000000006574: D2850007 0000A504
	v_add_u32_e32 v63, v6, v7                                  // 00000000657C: 687E0F06
	v_readlane_b32 s82, v3, 12                                 // 000000006580: D2890052 00011903
	s_lshr_b32 s61, s82, 24                                    // 000000006588: 8F3D9852
	s_and_b32 s82, s82, 0xffffff                               // 00000000658C: 8652FF52 00FFFFFF
	s_mul_i32 s82, s82, s71                                    // 000000006594: 92524752
	s_mul_i32 s61, s60, s61                                    // 000000006598: 923D3D3C
	s_add_u32 s82, s82, s61                                    // 00000000659C: 80523D52
	v_mul_lo_u32 v6, v5, s82                                   // 0000000065A0: D2850006 0000A505
	v_readlane_b32 s82, v3, 13                                 // 0000000065A8: D2890052 00011B03
	s_lshr_b32 s61, s82, 24                                    // 0000000065B0: 8F3D9852
	s_and_b32 s82, s82, 0xffffff                               // 0000000065B4: 8652FF52 00FFFFFF
	s_mul_i32 s82, s82, s71                                    // 0000000065BC: 92524752
	s_mul_i32 s61, s60, s61                                    // 0000000065C0: 923D3D3C
	s_add_u32 s82, s82, s61                                    // 0000000065C4: 80523D52
	v_mul_lo_u32 v7, v4, s82                                   // 0000000065C8: D2850007 0000A504
	v_add_u32_e32 v64, v6, v7                                  // 0000000065D0: 68800F06
	v_readlane_b32 s82, v3, 14                                 // 0000000065D4: D2890052 00011D03
	s_lshr_b32 s61, s82, 24                                    // 0000000065DC: 8F3D9852
	s_and_b32 s82, s82, 0xffffff                               // 0000000065E0: 8652FF52 00FFFFFF
	s_mul_i32 s82, s82, s71                                    // 0000000065E8: 92524752
	s_mul_i32 s61, s60, s61                                    // 0000000065EC: 923D3D3C
	s_add_u32 s82, s82, s61                                    // 0000000065F0: 80523D52
	v_mul_lo_u32 v6, v5, s82                                   // 0000000065F4: D2850006 0000A505
	v_readlane_b32 s82, v3, 15                                 // 0000000065FC: D2890052 00011F03
	s_lshr_b32 s61, s82, 24                                    // 000000006604: 8F3D9852
	s_and_b32 s82, s82, 0xffffff                               // 000000006608: 8652FF52 00FFFFFF
	s_mul_i32 s82, s82, s71                                    // 000000006610: 92524752
	s_mul_i32 s61, s60, s61                                    // 000000006614: 923D3D3C
	s_add_u32 s82, s82, s61                                    // 000000006618: 80523D52
	v_mul_lo_u32 v7, v4, s82                                   // 00000000661C: D2850007 0000A504
	v_add_u32_e32 v65, v6, v7                                  // 000000006624: 68820F06
	v_readlane_b32 s82, v3, 16                                 // 000000006628: D2890052 00012103
	s_lshr_b32 s61, s82, 24                                    // 000000006630: 8F3D9852
	s_and_b32 s82, s82, 0xffffff                               // 000000006634: 8652FF52 00FFFFFF
	s_mul_i32 s82, s82, s71                                    // 00000000663C: 92524752
	s_mul_i32 s61, s60, s61                                    // 000000006640: 923D3D3C
	s_add_u32 s82, s82, s61                                    // 000000006644: 80523D52
	v_mul_lo_u32 v6, v5, s82                                   // 000000006648: D2850006 0000A505
	v_readlane_b32 s82, v3, 17                                 // 000000006650: D2890052 00012303
	s_lshr_b32 s61, s82, 24                                    // 000000006658: 8F3D9852
	s_and_b32 s82, s82, 0xffffff                               // 00000000665C: 8652FF52 00FFFFFF
	s_mul_i32 s82, s82, s71                                    // 000000006664: 92524752
	s_mul_i32 s61, s60, s61                                    // 000000006668: 923D3D3C
	s_add_u32 s82, s82, s61                                    // 00000000666C: 80523D52
	v_mul_lo_u32 v7, v4, s82                                   // 000000006670: D2850007 0000A504
	v_add_u32_e32 v66, v6, v7                                  // 000000006678: 68840F06
	v_readlane_b32 s82, v3, 18                                 // 00000000667C: D2890052 00012503
	s_lshr_b32 s61, s82, 24                                    // 000000006684: 8F3D9852
	s_and_b32 s82, s82, 0xffffff                               // 000000006688: 8652FF52 00FFFFFF
	s_mul_i32 s82, s82, s71                                    // 000000006690: 92524752
	s_mul_i32 s61, s60, s61                                    // 000000006694: 923D3D3C
	s_add_u32 s82, s82, s61                                    // 000000006698: 80523D52
	v_mul_lo_u32 v6, v5, s82                                   // 00000000669C: D2850006 0000A505
	v_readlane_b32 s82, v3, 19                                 // 0000000066A4: D2890052 00012703
	s_lshr_b32 s61, s82, 24                                    // 0000000066AC: 8F3D9852
	s_and_b32 s82, s82, 0xffffff                               // 0000000066B0: 8652FF52 00FFFFFF
	s_mul_i32 s82, s82, s71                                    // 0000000066B8: 92524752
	s_mul_i32 s61, s60, s61                                    // 0000000066BC: 923D3D3C
	s_add_u32 s82, s82, s61                                    // 0000000066C0: 80523D52
	v_mul_lo_u32 v7, v4, s82                                   // 0000000066C4: D2850007 0000A504
	v_add_u32_e32 v67, v6, v7                                  // 0000000066CC: 68860F06
	v_readlane_b32 s82, v3, 20                                 // 0000000066D0: D2890052 00012903
	s_lshr_b32 s61, s82, 24                                    // 0000000066D8: 8F3D9852
	s_and_b32 s82, s82, 0xffffff                               // 0000000066DC: 8652FF52 00FFFFFF
	s_mul_i32 s82, s82, s71                                    // 0000000066E4: 92524752
	s_mul_i32 s61, s60, s61                                    // 0000000066E8: 923D3D3C
	s_add_u32 s82, s82, s61                                    // 0000000066EC: 80523D52
	v_mul_lo_u32 v6, v5, s82                                   // 0000000066F0: D2850006 0000A505
	v_readlane_b32 s82, v3, 21                                 // 0000000066F8: D2890052 00012B03
	s_lshr_b32 s61, s82, 24                                    // 000000006700: 8F3D9852
	s_and_b32 s82, s82, 0xffffff                               // 000000006704: 8652FF52 00FFFFFF
	s_mul_i32 s82, s82, s71                                    // 00000000670C: 92524752
	s_mul_i32 s61, s60, s61                                    // 000000006710: 923D3D3C
	s_add_u32 s82, s82, s61                                    // 000000006714: 80523D52
	v_mul_lo_u32 v7, v4, s82                                   // 000000006718: D2850007 0000A504
	v_add_u32_e32 v68, v6, v7                                  // 000000006720: 68880F06
	v_readlane_b32 s82, v3, 22                                 // 000000006724: D2890052 00012D03
	s_lshr_b32 s61, s82, 24                                    // 00000000672C: 8F3D9852
	s_and_b32 s82, s82, 0xffffff                               // 000000006730: 8652FF52 00FFFFFF
	s_mul_i32 s82, s82, s71                                    // 000000006738: 92524752
	s_mul_i32 s61, s60, s61                                    // 00000000673C: 923D3D3C
	s_add_u32 s82, s82, s61                                    // 000000006740: 80523D52
	v_mul_lo_u32 v6, v5, s82                                   // 000000006744: D2850006 0000A505
	v_readlane_b32 s82, v3, 23                                 // 00000000674C: D2890052 00012F03
	s_lshr_b32 s61, s82, 24                                    // 000000006754: 8F3D9852
	s_and_b32 s82, s82, 0xffffff                               // 000000006758: 8652FF52 00FFFFFF
	s_mul_i32 s82, s82, s71                                    // 000000006760: 92524752
	s_mul_i32 s61, s60, s61                                    // 000000006764: 923D3D3C
	s_add_u32 s82, s82, s61                                    // 000000006768: 80523D52
	v_mul_lo_u32 v7, v4, s82                                   // 00000000676C: D2850007 0000A504
	v_add_u32_e32 v69, v6, v7                                  // 000000006774: 688A0F06
	v_readlane_b32 s82, v3, 24                                 // 000000006778: D2890052 00013103
	s_lshr_b32 s61, s82, 24                                    // 000000006780: 8F3D9852
	s_and_b32 s82, s82, 0xffffff                               // 000000006784: 8652FF52 00FFFFFF
	s_mul_i32 s82, s82, s71                                    // 00000000678C: 92524752
	s_mul_i32 s61, s60, s61                                    // 000000006790: 923D3D3C
	s_add_u32 s82, s82, s61                                    // 000000006794: 80523D52
	v_mul_lo_u32 v6, v5, s82                                   // 000000006798: D2850006 0000A505
	v_readlane_b32 s82, v3, 25                                 // 0000000067A0: D2890052 00013303
	s_lshr_b32 s61, s82, 24                                    // 0000000067A8: 8F3D9852
	s_and_b32 s82, s82, 0xffffff                               // 0000000067AC: 8652FF52 00FFFFFF
	s_mul_i32 s82, s82, s71                                    // 0000000067B4: 92524752
	s_mul_i32 s61, s60, s61                                    // 0000000067B8: 923D3D3C
	s_add_u32 s82, s82, s61                                    // 0000000067BC: 80523D52
	v_mul_lo_u32 v7, v4, s82                                   // 0000000067C0: D2850007 0000A504
	v_add_u32_e32 v70, v6, v7                                  // 0000000067C8: 688C0F06
	v_readlane_b32 s82, v3, 26                                 // 0000000067CC: D2890052 00013503
	s_lshr_b32 s61, s82, 24                                    // 0000000067D4: 8F3D9852
	s_and_b32 s82, s82, 0xffffff                               // 0000000067D8: 8652FF52 00FFFFFF
	s_mul_i32 s82, s82, s71                                    // 0000000067E0: 92524752
	s_mul_i32 s61, s60, s61                                    // 0000000067E4: 923D3D3C
	s_add_u32 s82, s82, s61                                    // 0000000067E8: 80523D52
	v_mul_lo_u32 v6, v5, s82                                   // 0000000067EC: D2850006 0000A505
	v_readlane_b32 s82, v3, 27                                 // 0000000067F4: D2890052 00013703
	s_lshr_b32 s61, s82, 24                                    // 0000000067FC: 8F3D9852
	s_and_b32 s82, s82, 0xffffff                               // 000000006800: 8652FF52 00FFFFFF
	s_mul_i32 s82, s82, s71                                    // 000000006808: 92524752
	s_mul_i32 s61, s60, s61                                    // 00000000680C: 923D3D3C
	s_add_u32 s82, s82, s61                                    // 000000006810: 80523D52
	v_mul_lo_u32 v7, v4, s82                                   // 000000006814: D2850007 0000A504
	v_add_u32_e32 v71, v6, v7                                  // 00000000681C: 688E0F06
	v_and_b32_e32 v4, 31, v0                                   // 000000006820: 2608009F
	v_lshrrev_b32_e32 v4, 1, v4                                // 000000006824: 20080881
	s_cmp_eq_u32 s88, 0                                        // 000000006828: BF068058
	s_cselect_b32 s61, 2, 4                                    // 00000000682C: 853D8482
	v_mul_lo_u32 v4, v4, s61                                   // 000000006830: D2850004 00007B04
	v_and_b32_e64 v5, v0, 1                                    // 000000006838: D1130005 00010300
	v_add_u32_e32 v4, v4, v5                                   // 000000006840: 68080B04
	v_lshlrev_b32_e32 v4, 2, v4                                // 000000006844: 24080882
	v_add_u32_e32 v58, v58, v4                                 // 000000006848: 6874093A
	v_add_u32_e32 v59, v59, v4                                 // 00000000684C: 6876093B
	v_add_u32_e32 v60, v60, v4                                 // 000000006850: 6878093C
	v_add_u32_e32 v61, v61, v4                                 // 000000006854: 687A093D
	v_add_u32_e32 v62, v62, v4                                 // 000000006858: 687C093E
	v_add_u32_e32 v63, v63, v4                                 // 00000000685C: 687E093F
	v_add_u32_e32 v64, v64, v4                                 // 000000006860: 68800940
	v_add_u32_e32 v65, v65, v4                                 // 000000006864: 68820941
	;; [unrolled: 1-line block ×3, first 2 shown]
	v_add_u32_e32 v67, v67, v4                                 // 00000000686C: 68860943
	v_add_u32_e32 v68, v68, v4                                 // 000000006870: 68880944
	v_add_u32_e32 v69, v69, v4                                 // 000000006874: 688A0945
	v_add_u32_e32 v70, v70, v4                                 // 000000006878: 688C0946
	v_add_u32_e32 v71, v71, v4                                 // 00000000687C: 688E0947
	s_waitcnt lgkmcnt(0)                                       // 000000006880: BF8CC07F
	s_barrier                                                  // 000000006884: BF8A0000
	ds_read_b32 v76, v21                                       // 000000006888: D86C0000 4C000015
	ds_read_b32 v77, v21 offset:64                             // 000000006890: D86C0040 4D000015
	ds_read_b32 v80, v21 offset:2176                           // 000000006898: D86C0880 50000015
	ds_read_b32 v81, v21 offset:2240                           // 0000000068A0: D86C08C0 51000015
	ds_read_b32 v84, v21 offset:4352                           // 0000000068A8: D86C1100 54000015
	ds_read_b32 v85, v21 offset:4416                           // 0000000068B0: D86C1140 55000015
	ds_read_b32 v88, v21 offset:6528                           // 0000000068B8: D86C1980 58000015
	ds_read_b32 v89, v21 offset:6592                           // 0000000068C0: D86C19C0 59000015
	ds_read_b32 v92, v21 offset:8704                           // 0000000068C8: D86C2200 5C000015
	ds_read_b32 v93, v21 offset:8768                           // 0000000068D0: D86C2240 5D000015
	ds_read_b32 v96, v21 offset:10880                          // 0000000068D8: D86C2A80 60000015
	ds_read_b32 v97, v21 offset:10944                          // 0000000068E0: D86C2AC0 61000015
	ds_read_b32 v100, v21 offset:13056                         // 0000000068E8: D86C3300 64000015
	ds_read_b32 v101, v21 offset:13120                         // 0000000068F0: D86C3340 65000015
	s_waitcnt lgkmcnt(0)                                       // 0000000068F8: BF8CC07F
	s_mov_b32 s36, -1                                          // 0000000068FC: BEA400C1
	s_mov_b32 s37, -1                                          // 000000006900: BEA500C1
	v_mov_b32_e32 v7, 0                                        // 000000006904: 7E0E0280
	s_mov_b64 exec, s[36:37]                                   // 000000006908: BEFE0124
	v_mov_b32_e32 v6, v58                                      // 00000000690C: 7E0C033A
	s_mov_b64 s[60:61], 0                                      // 000000006910: BEBC0180
	v_readlane_b32 s82, v3, 0                                  // 000000006914: D2890052 00010103
	s_and_b32 s82, s82, 0xffffff                               // 00000000691C: 8652FF52 00FFFFFF
	s_cmp_lt_u32 s82, s66                                      // 000000006924: BF0A4252
	s_cselect_b32 s20, s36, s60                                // 000000006928: 85143C24
	v_readlane_b32 s82, v3, 1                                  // 00000000692C: D2890052 00010303
	s_and_b32 s82, s82, 0xffffff                               // 000000006934: 8652FF52 00FFFFFF
	s_cmp_lt_u32 s82, s66                                      // 00000000693C: BF0A4252
	s_cselect_b32 s21, s36, s60                                // 000000006940: 85153C24
	s_mov_b64 exec, s[20:21]                                   // 000000006944: BEFE0114
	global_atomic_add_f32 v6, v76, s[8:9]                      // 000000006948: DD348000 00084C06
	s_mov_b64 exec, s[36:37]                                   // 000000006950: BEFE0124
	v_mov_b32_e32 v6, v59                                      // 000000006954: 7E0C033B
	s_mov_b64 s[60:61], 0                                      // 000000006958: BEBC0180
	v_readlane_b32 s82, v3, 2                                  // 00000000695C: D2890052 00010503
	s_and_b32 s82, s82, 0xffffff                               // 000000006964: 8652FF52 00FFFFFF
	s_cmp_lt_u32 s82, s66                                      // 00000000696C: BF0A4252
	s_cselect_b32 s20, s36, s60                                // 000000006970: 85143C24
	v_readlane_b32 s82, v3, 3                                  // 000000006974: D2890052 00010703
	s_and_b32 s82, s82, 0xffffff                               // 00000000697C: 8652FF52 00FFFFFF
	s_cmp_lt_u32 s82, s66                                      // 000000006984: BF0A4252
	s_cselect_b32 s21, s36, s60                                // 000000006988: 85153C24
	s_mov_b64 exec, s[20:21]                                   // 00000000698C: BEFE0114
	global_atomic_add_f32 v6, v77, s[8:9]                      // 000000006990: DD348000 00084D06
	s_mov_b64 exec, s[36:37]                                   // 000000006998: BEFE0124
	v_mov_b32_e32 v6, v60                                      // 00000000699C: 7E0C033C
	s_mov_b64 s[60:61], 0                                      // 0000000069A0: BEBC0180
	v_readlane_b32 s82, v3, 4                                  // 0000000069A4: D2890052 00010903
	s_and_b32 s82, s82, 0xffffff                               // 0000000069AC: 8652FF52 00FFFFFF
	s_cmp_lt_u32 s82, s66                                      // 0000000069B4: BF0A4252
	s_cselect_b32 s20, s36, s60                                // 0000000069B8: 85143C24
	v_readlane_b32 s82, v3, 5                                  // 0000000069BC: D2890052 00010B03
	s_and_b32 s82, s82, 0xffffff                               // 0000000069C4: 8652FF52 00FFFFFF
	s_cmp_lt_u32 s82, s66                                      // 0000000069CC: BF0A4252
	s_cselect_b32 s21, s36, s60                                // 0000000069D0: 85153C24
	s_mov_b64 exec, s[20:21]                                   // 0000000069D4: BEFE0114
	global_atomic_add_f32 v6, v80, s[8:9]                      // 0000000069D8: DD348000 00085006
	s_mov_b64 exec, s[36:37]                                   // 0000000069E0: BEFE0124
	v_mov_b32_e32 v6, v61                                      // 0000000069E4: 7E0C033D
	s_mov_b64 s[60:61], 0                                      // 0000000069E8: BEBC0180
	v_readlane_b32 s82, v3, 6                                  // 0000000069EC: D2890052 00010D03
	s_and_b32 s82, s82, 0xffffff                               // 0000000069F4: 8652FF52 00FFFFFF
	s_cmp_lt_u32 s82, s66                                      // 0000000069FC: BF0A4252
	s_cselect_b32 s20, s36, s60                                // 000000006A00: 85143C24
	v_readlane_b32 s82, v3, 7                                  // 000000006A04: D2890052 00010F03
	s_and_b32 s82, s82, 0xffffff                               // 000000006A0C: 8652FF52 00FFFFFF
	s_cmp_lt_u32 s82, s66                                      // 000000006A14: BF0A4252
	s_cselect_b32 s21, s36, s60                                // 000000006A18: 85153C24
	s_mov_b64 exec, s[20:21]                                   // 000000006A1C: BEFE0114
	global_atomic_add_f32 v6, v81, s[8:9]                      // 000000006A20: DD348000 00085106
	s_mov_b64 exec, s[36:37]                                   // 000000006A28: BEFE0124
	v_mov_b32_e32 v6, v62                                      // 000000006A2C: 7E0C033E
	s_mov_b64 s[60:61], 0                                      // 000000006A30: BEBC0180
	v_readlane_b32 s82, v3, 8                                  // 000000006A34: D2890052 00011103
	s_and_b32 s82, s82, 0xffffff                               // 000000006A3C: 8652FF52 00FFFFFF
	s_cmp_lt_u32 s82, s66                                      // 000000006A44: BF0A4252
	s_cselect_b32 s20, s36, s60                                // 000000006A48: 85143C24
	v_readlane_b32 s82, v3, 9                                  // 000000006A4C: D2890052 00011303
	s_and_b32 s82, s82, 0xffffff                               // 000000006A54: 8652FF52 00FFFFFF
	s_cmp_lt_u32 s82, s66                                      // 000000006A5C: BF0A4252
	s_cselect_b32 s21, s36, s60                                // 000000006A60: 85153C24
	s_mov_b64 exec, s[20:21]                                   // 000000006A64: BEFE0114
	global_atomic_add_f32 v6, v84, s[8:9]                      // 000000006A68: DD348000 00085406
	s_mov_b64 exec, s[36:37]                                   // 000000006A70: BEFE0124
	v_mov_b32_e32 v6, v63                                      // 000000006A74: 7E0C033F
	s_mov_b64 s[60:61], 0                                      // 000000006A78: BEBC0180
	v_readlane_b32 s82, v3, 10                                 // 000000006A7C: D2890052 00011503
	s_and_b32 s82, s82, 0xffffff                               // 000000006A84: 8652FF52 00FFFFFF
	s_cmp_lt_u32 s82, s66                                      // 000000006A8C: BF0A4252
	s_cselect_b32 s20, s36, s60                                // 000000006A90: 85143C24
	v_readlane_b32 s82, v3, 11                                 // 000000006A94: D2890052 00011703
	s_and_b32 s82, s82, 0xffffff                               // 000000006A9C: 8652FF52 00FFFFFF
	s_cmp_lt_u32 s82, s66                                      // 000000006AA4: BF0A4252
	s_cselect_b32 s21, s36, s60                                // 000000006AA8: 85153C24
	s_mov_b64 exec, s[20:21]                                   // 000000006AAC: BEFE0114
	global_atomic_add_f32 v6, v85, s[8:9]                      // 000000006AB0: DD348000 00085506
	s_mov_b64 exec, s[36:37]                                   // 000000006AB8: BEFE0124
	v_mov_b32_e32 v6, v64                                      // 000000006ABC: 7E0C0340
	s_mov_b64 s[60:61], 0                                      // 000000006AC0: BEBC0180
	v_readlane_b32 s82, v3, 12                                 // 000000006AC4: D2890052 00011903
	s_and_b32 s82, s82, 0xffffff                               // 000000006ACC: 8652FF52 00FFFFFF
	s_cmp_lt_u32 s82, s66                                      // 000000006AD4: BF0A4252
	s_cselect_b32 s20, s36, s60                                // 000000006AD8: 85143C24
	v_readlane_b32 s82, v3, 13                                 // 000000006ADC: D2890052 00011B03
	s_and_b32 s82, s82, 0xffffff                               // 000000006AE4: 8652FF52 00FFFFFF
	s_cmp_lt_u32 s82, s66                                      // 000000006AEC: BF0A4252
	s_cselect_b32 s21, s36, s60                                // 000000006AF0: 85153C24
	s_mov_b64 exec, s[20:21]                                   // 000000006AF4: BEFE0114
	global_atomic_add_f32 v6, v88, s[8:9]                      // 000000006AF8: DD348000 00085806
	s_mov_b64 exec, s[36:37]                                   // 000000006B00: BEFE0124
	v_mov_b32_e32 v6, v65                                      // 000000006B04: 7E0C0341
	s_mov_b64 s[60:61], 0                                      // 000000006B08: BEBC0180
	v_readlane_b32 s82, v3, 14                                 // 000000006B0C: D2890052 00011D03
	s_and_b32 s82, s82, 0xffffff                               // 000000006B14: 8652FF52 00FFFFFF
	s_cmp_lt_u32 s82, s66                                      // 000000006B1C: BF0A4252
	s_cselect_b32 s20, s36, s60                                // 000000006B20: 85143C24
	v_readlane_b32 s82, v3, 15                                 // 000000006B24: D2890052 00011F03
	s_and_b32 s82, s82, 0xffffff                               // 000000006B2C: 8652FF52 00FFFFFF
	s_cmp_lt_u32 s82, s66                                      // 000000006B34: BF0A4252
	s_cselect_b32 s21, s36, s60                                // 000000006B38: 85153C24
	s_mov_b64 exec, s[20:21]                                   // 000000006B3C: BEFE0114
	global_atomic_add_f32 v6, v89, s[8:9]                      // 000000006B40: DD348000 00085906
	s_mov_b64 exec, s[36:37]                                   // 000000006B48: BEFE0124
	v_mov_b32_e32 v6, v66                                      // 000000006B4C: 7E0C0342
	s_mov_b64 s[60:61], 0                                      // 000000006B50: BEBC0180
	v_readlane_b32 s82, v3, 16                                 // 000000006B54: D2890052 00012103
	s_and_b32 s82, s82, 0xffffff                               // 000000006B5C: 8652FF52 00FFFFFF
	s_cmp_lt_u32 s82, s66                                      // 000000006B64: BF0A4252
	s_cselect_b32 s20, s36, s60                                // 000000006B68: 85143C24
	v_readlane_b32 s82, v3, 17                                 // 000000006B6C: D2890052 00012303
	s_and_b32 s82, s82, 0xffffff                               // 000000006B74: 8652FF52 00FFFFFF
	s_cmp_lt_u32 s82, s66                                      // 000000006B7C: BF0A4252
	s_cselect_b32 s21, s36, s60                                // 000000006B80: 85153C24
	s_mov_b64 exec, s[20:21]                                   // 000000006B84: BEFE0114
	global_atomic_add_f32 v6, v92, s[8:9]                      // 000000006B88: DD348000 00085C06
	s_mov_b64 exec, s[36:37]                                   // 000000006B90: BEFE0124
	v_mov_b32_e32 v6, v67                                      // 000000006B94: 7E0C0343
	s_mov_b64 s[60:61], 0                                      // 000000006B98: BEBC0180
	v_readlane_b32 s82, v3, 18                                 // 000000006B9C: D2890052 00012503
	s_and_b32 s82, s82, 0xffffff                               // 000000006BA4: 8652FF52 00FFFFFF
	s_cmp_lt_u32 s82, s66                                      // 000000006BAC: BF0A4252
	s_cselect_b32 s20, s36, s60                                // 000000006BB0: 85143C24
	v_readlane_b32 s82, v3, 19                                 // 000000006BB4: D2890052 00012703
	s_and_b32 s82, s82, 0xffffff                               // 000000006BBC: 8652FF52 00FFFFFF
	s_cmp_lt_u32 s82, s66                                      // 000000006BC4: BF0A4252
	s_cselect_b32 s21, s36, s60                                // 000000006BC8: 85153C24
	s_mov_b64 exec, s[20:21]                                   // 000000006BCC: BEFE0114
	global_atomic_add_f32 v6, v93, s[8:9]                      // 000000006BD0: DD348000 00085D06
	s_mov_b64 exec, s[36:37]                                   // 000000006BD8: BEFE0124
	v_mov_b32_e32 v6, v68                                      // 000000006BDC: 7E0C0344
	s_mov_b64 s[60:61], 0                                      // 000000006BE0: BEBC0180
	v_readlane_b32 s82, v3, 20                                 // 000000006BE4: D2890052 00012903
	s_and_b32 s82, s82, 0xffffff                               // 000000006BEC: 8652FF52 00FFFFFF
	s_cmp_lt_u32 s82, s66                                      // 000000006BF4: BF0A4252
	s_cselect_b32 s20, s36, s60                                // 000000006BF8: 85143C24
	v_readlane_b32 s82, v3, 21                                 // 000000006BFC: D2890052 00012B03
	s_and_b32 s82, s82, 0xffffff                               // 000000006C04: 8652FF52 00FFFFFF
	s_cmp_lt_u32 s82, s66                                      // 000000006C0C: BF0A4252
	s_cselect_b32 s21, s36, s60                                // 000000006C10: 85153C24
	s_mov_b64 exec, s[20:21]                                   // 000000006C14: BEFE0114
	global_atomic_add_f32 v6, v96, s[8:9]                      // 000000006C18: DD348000 00086006
	s_mov_b64 exec, s[36:37]                                   // 000000006C20: BEFE0124
	v_mov_b32_e32 v6, v69                                      // 000000006C24: 7E0C0345
	s_mov_b64 s[60:61], 0                                      // 000000006C28: BEBC0180
	v_readlane_b32 s82, v3, 22                                 // 000000006C2C: D2890052 00012D03
	s_and_b32 s82, s82, 0xffffff                               // 000000006C34: 8652FF52 00FFFFFF
	s_cmp_lt_u32 s82, s66                                      // 000000006C3C: BF0A4252
	s_cselect_b32 s20, s36, s60                                // 000000006C40: 85143C24
	v_readlane_b32 s82, v3, 23                                 // 000000006C44: D2890052 00012F03
	s_and_b32 s82, s82, 0xffffff                               // 000000006C4C: 8652FF52 00FFFFFF
	s_cmp_lt_u32 s82, s66                                      // 000000006C54: BF0A4252
	s_cselect_b32 s21, s36, s60                                // 000000006C58: 85153C24
	s_mov_b64 exec, s[20:21]                                   // 000000006C5C: BEFE0114
	global_atomic_add_f32 v6, v97, s[8:9]                      // 000000006C60: DD348000 00086106
	s_mov_b64 exec, s[36:37]                                   // 000000006C68: BEFE0124
	v_mov_b32_e32 v6, v70                                      // 000000006C6C: 7E0C0346
	s_mov_b64 s[60:61], 0                                      // 000000006C70: BEBC0180
	v_readlane_b32 s82, v3, 24                                 // 000000006C74: D2890052 00013103
	s_and_b32 s82, s82, 0xffffff                               // 000000006C7C: 8652FF52 00FFFFFF
	s_cmp_lt_u32 s82, s66                                      // 000000006C84: BF0A4252
	s_cselect_b32 s20, s36, s60                                // 000000006C88: 85143C24
	v_readlane_b32 s82, v3, 25                                 // 000000006C8C: D2890052 00013303
	s_and_b32 s82, s82, 0xffffff                               // 000000006C94: 8652FF52 00FFFFFF
	s_cmp_lt_u32 s82, s66                                      // 000000006C9C: BF0A4252
	s_cselect_b32 s21, s36, s60                                // 000000006CA0: 85153C24
	s_mov_b64 exec, s[20:21]                                   // 000000006CA4: BEFE0114
	global_atomic_add_f32 v6, v100, s[8:9]                     // 000000006CA8: DD348000 00086406
	s_mov_b64 exec, s[36:37]                                   // 000000006CB0: BEFE0124
	v_mov_b32_e32 v6, v71                                      // 000000006CB4: 7E0C0347
	s_mov_b64 s[60:61], 0                                      // 000000006CB8: BEBC0180
	v_readlane_b32 s82, v3, 26                                 // 000000006CBC: D2890052 00013503
	s_and_b32 s82, s82, 0xffffff                               // 000000006CC4: 8652FF52 00FFFFFF
	s_cmp_lt_u32 s82, s66                                      // 000000006CCC: BF0A4252
	s_cselect_b32 s20, s36, s60                                // 000000006CD0: 85143C24
	v_readlane_b32 s82, v3, 27                                 // 000000006CD4: D2890052 00013703
	s_and_b32 s82, s82, 0xffffff                               // 000000006CDC: 8652FF52 00FFFFFF
	s_cmp_lt_u32 s82, s66                                      // 000000006CE4: BF0A4252
	s_cselect_b32 s21, s36, s60                                // 000000006CE8: 85153C24
	s_mov_b64 exec, s[20:21]                                   // 000000006CEC: BEFE0114
	global_atomic_add_f32 v6, v101, s[8:9]                     // 000000006CF0: DD348000 00086506
	s_mov_b64 exec, s[36:37]                                   // 000000006CF8: BEFE0124
	ds_write_b64 v20, v[78:79]                                 // 000000006CFC: D89A0000 00004E14
	ds_write_b64 v20, v[82:83] offset:2176                     // 000000006D04: D89A0880 00005214
	ds_write_b64 v20, v[86:87] offset:4352                     // 000000006D0C: D89A1100 00005614
	ds_write_b64 v20, v[90:91] offset:6528                     // 000000006D14: D89A1980 00005A14
	ds_write_b64 v20, v[94:95] offset:8704                     // 000000006D1C: D89A2200 00005E14
	ds_write_b64 v20, v[98:99] offset:10880                    // 000000006D24: D89A2A80 00006214
	ds_write_b64 v20, v[102:103] offset:13056                  // 000000006D2C: D89A3300 00006614
	s_waitcnt lgkmcnt(0)                                       // 000000006D34: BF8CC07F
	s_barrier                                                  // 000000006D38: BF8A0000
	ds_read_b32 v78, v21                                       // 000000006D3C: D86C0000 4E000015
	ds_read_b32 v79, v21 offset:64                             // 000000006D44: D86C0040 4F000015
	ds_read_b32 v82, v21 offset:2176                           // 000000006D4C: D86C0880 52000015
	ds_read_b32 v83, v21 offset:2240                           // 000000006D54: D86C08C0 53000015
	ds_read_b32 v86, v21 offset:4352                           // 000000006D5C: D86C1100 56000015
	ds_read_b32 v87, v21 offset:4416                           // 000000006D64: D86C1140 57000015
	ds_read_b32 v90, v21 offset:6528                           // 000000006D6C: D86C1980 5A000015
	ds_read_b32 v91, v21 offset:6592                           // 000000006D74: D86C19C0 5B000015
	ds_read_b32 v94, v21 offset:8704                           // 000000006D7C: D86C2200 5E000015
	ds_read_b32 v95, v21 offset:8768                           // 000000006D84: D86C2240 5F000015
	ds_read_b32 v98, v21 offset:10880                          // 000000006D8C: D86C2A80 62000015
	ds_read_b32 v99, v21 offset:10944                          // 000000006D94: D86C2AC0 63000015
	ds_read_b32 v102, v21 offset:13056                         // 000000006D9C: D86C3300 66000015
	ds_read_b32 v103, v21 offset:13120                         // 000000006DA4: D86C3340 67000015
	s_waitcnt lgkmcnt(0)                                       // 000000006DAC: BF8CC07F
	v_mov_b32_e32 v7, 0                                        // 000000006DB0: 7E0E0280
	s_mov_b64 exec, s[36:37]                                   // 000000006DB4: BEFE0124
	v_mov_b32_e32 v6, v58                                      // 000000006DB8: 7E0C033A
	s_mov_b64 s[60:61], 0                                      // 000000006DBC: BEBC0180
	v_readlane_b32 s82, v3, 0                                  // 000000006DC0: D2890052 00010103
	s_and_b32 s82, s82, 0xffffff                               // 000000006DC8: 8652FF52 00FFFFFF
	s_cmp_lt_u32 s82, s66                                      // 000000006DD0: BF0A4252
	s_cselect_b32 s20, s36, s60                                // 000000006DD4: 85143C24
	v_readlane_b32 s82, v3, 1                                  // 000000006DD8: D2890052 00010303
	s_and_b32 s82, s82, 0xffffff                               // 000000006DE0: 8652FF52 00FFFFFF
	s_cmp_lt_u32 s82, s66                                      // 000000006DE8: BF0A4252
	s_cselect_b32 s21, s36, s60                                // 000000006DEC: 85153C24
	s_mov_b64 exec, s[20:21]                                   // 000000006DF0: BEFE0114
	global_atomic_add_f32 v6, v78, s[8:9] offset:8             // 000000006DF4: DD348008 00084E06
	s_mov_b64 exec, s[36:37]                                   // 000000006DFC: BEFE0124
	v_mov_b32_e32 v6, v59                                      // 000000006E00: 7E0C033B
	s_mov_b64 s[60:61], 0                                      // 000000006E04: BEBC0180
	v_readlane_b32 s82, v3, 2                                  // 000000006E08: D2890052 00010503
	s_and_b32 s82, s82, 0xffffff                               // 000000006E10: 8652FF52 00FFFFFF
	s_cmp_lt_u32 s82, s66                                      // 000000006E18: BF0A4252
	s_cselect_b32 s20, s36, s60                                // 000000006E1C: 85143C24
	v_readlane_b32 s82, v3, 3                                  // 000000006E20: D2890052 00010703
	s_and_b32 s82, s82, 0xffffff                               // 000000006E28: 8652FF52 00FFFFFF
	s_cmp_lt_u32 s82, s66                                      // 000000006E30: BF0A4252
	s_cselect_b32 s21, s36, s60                                // 000000006E34: 85153C24
	s_mov_b64 exec, s[20:21]                                   // 000000006E38: BEFE0114
	global_atomic_add_f32 v6, v79, s[8:9] offset:8             // 000000006E3C: DD348008 00084F06
	s_mov_b64 exec, s[36:37]                                   // 000000006E44: BEFE0124
	v_mov_b32_e32 v6, v60                                      // 000000006E48: 7E0C033C
	s_mov_b64 s[60:61], 0                                      // 000000006E4C: BEBC0180
	v_readlane_b32 s82, v3, 4                                  // 000000006E50: D2890052 00010903
	s_and_b32 s82, s82, 0xffffff                               // 000000006E58: 8652FF52 00FFFFFF
	s_cmp_lt_u32 s82, s66                                      // 000000006E60: BF0A4252
	s_cselect_b32 s20, s36, s60                                // 000000006E64: 85143C24
	v_readlane_b32 s82, v3, 5                                  // 000000006E68: D2890052 00010B03
	s_and_b32 s82, s82, 0xffffff                               // 000000006E70: 8652FF52 00FFFFFF
	s_cmp_lt_u32 s82, s66                                      // 000000006E78: BF0A4252
	s_cselect_b32 s21, s36, s60                                // 000000006E7C: 85153C24
	s_mov_b64 exec, s[20:21]                                   // 000000006E80: BEFE0114
	global_atomic_add_f32 v6, v82, s[8:9] offset:8             // 000000006E84: DD348008 00085206
	s_mov_b64 exec, s[36:37]                                   // 000000006E8C: BEFE0124
	v_mov_b32_e32 v6, v61                                      // 000000006E90: 7E0C033D
	s_mov_b64 s[60:61], 0                                      // 000000006E94: BEBC0180
	v_readlane_b32 s82, v3, 6                                  // 000000006E98: D2890052 00010D03
	s_and_b32 s82, s82, 0xffffff                               // 000000006EA0: 8652FF52 00FFFFFF
	s_cmp_lt_u32 s82, s66                                      // 000000006EA8: BF0A4252
	s_cselect_b32 s20, s36, s60                                // 000000006EAC: 85143C24
	v_readlane_b32 s82, v3, 7                                  // 000000006EB0: D2890052 00010F03
	s_and_b32 s82, s82, 0xffffff                               // 000000006EB8: 8652FF52 00FFFFFF
	s_cmp_lt_u32 s82, s66                                      // 000000006EC0: BF0A4252
	s_cselect_b32 s21, s36, s60                                // 000000006EC4: 85153C24
	s_mov_b64 exec, s[20:21]                                   // 000000006EC8: BEFE0114
	global_atomic_add_f32 v6, v83, s[8:9] offset:8             // 000000006ECC: DD348008 00085306
	s_mov_b64 exec, s[36:37]                                   // 000000006ED4: BEFE0124
	v_mov_b32_e32 v6, v62                                      // 000000006ED8: 7E0C033E
	s_mov_b64 s[60:61], 0                                      // 000000006EDC: BEBC0180
	v_readlane_b32 s82, v3, 8                                  // 000000006EE0: D2890052 00011103
	s_and_b32 s82, s82, 0xffffff                               // 000000006EE8: 8652FF52 00FFFFFF
	s_cmp_lt_u32 s82, s66                                      // 000000006EF0: BF0A4252
	s_cselect_b32 s20, s36, s60                                // 000000006EF4: 85143C24
	v_readlane_b32 s82, v3, 9                                  // 000000006EF8: D2890052 00011303
	s_and_b32 s82, s82, 0xffffff                               // 000000006F00: 8652FF52 00FFFFFF
	s_cmp_lt_u32 s82, s66                                      // 000000006F08: BF0A4252
	s_cselect_b32 s21, s36, s60                                // 000000006F0C: 85153C24
	s_mov_b64 exec, s[20:21]                                   // 000000006F10: BEFE0114
	global_atomic_add_f32 v6, v86, s[8:9] offset:8             // 000000006F14: DD348008 00085606
	s_mov_b64 exec, s[36:37]                                   // 000000006F1C: BEFE0124
	v_mov_b32_e32 v6, v63                                      // 000000006F20: 7E0C033F
	s_mov_b64 s[60:61], 0                                      // 000000006F24: BEBC0180
	v_readlane_b32 s82, v3, 10                                 // 000000006F28: D2890052 00011503
	s_and_b32 s82, s82, 0xffffff                               // 000000006F30: 8652FF52 00FFFFFF
	s_cmp_lt_u32 s82, s66                                      // 000000006F38: BF0A4252
	s_cselect_b32 s20, s36, s60                                // 000000006F3C: 85143C24
	v_readlane_b32 s82, v3, 11                                 // 000000006F40: D2890052 00011703
	s_and_b32 s82, s82, 0xffffff                               // 000000006F48: 8652FF52 00FFFFFF
	s_cmp_lt_u32 s82, s66                                      // 000000006F50: BF0A4252
	s_cselect_b32 s21, s36, s60                                // 000000006F54: 85153C24
	s_mov_b64 exec, s[20:21]                                   // 000000006F58: BEFE0114
	global_atomic_add_f32 v6, v87, s[8:9] offset:8             // 000000006F5C: DD348008 00085706
	s_mov_b64 exec, s[36:37]                                   // 000000006F64: BEFE0124
	v_mov_b32_e32 v6, v64                                      // 000000006F68: 7E0C0340
	s_mov_b64 s[60:61], 0                                      // 000000006F6C: BEBC0180
	v_readlane_b32 s82, v3, 12                                 // 000000006F70: D2890052 00011903
	s_and_b32 s82, s82, 0xffffff                               // 000000006F78: 8652FF52 00FFFFFF
	s_cmp_lt_u32 s82, s66                                      // 000000006F80: BF0A4252
	s_cselect_b32 s20, s36, s60                                // 000000006F84: 85143C24
	v_readlane_b32 s82, v3, 13                                 // 000000006F88: D2890052 00011B03
	s_and_b32 s82, s82, 0xffffff                               // 000000006F90: 8652FF52 00FFFFFF
	s_cmp_lt_u32 s82, s66                                      // 000000006F98: BF0A4252
	s_cselect_b32 s21, s36, s60                                // 000000006F9C: 85153C24
	s_mov_b64 exec, s[20:21]                                   // 000000006FA0: BEFE0114
	global_atomic_add_f32 v6, v90, s[8:9] offset:8             // 000000006FA4: DD348008 00085A06
	s_mov_b64 exec, s[36:37]                                   // 000000006FAC: BEFE0124
	v_mov_b32_e32 v6, v65                                      // 000000006FB0: 7E0C0341
	s_mov_b64 s[60:61], 0                                      // 000000006FB4: BEBC0180
	v_readlane_b32 s82, v3, 14                                 // 000000006FB8: D2890052 00011D03
	s_and_b32 s82, s82, 0xffffff                               // 000000006FC0: 8652FF52 00FFFFFF
	s_cmp_lt_u32 s82, s66                                      // 000000006FC8: BF0A4252
	s_cselect_b32 s20, s36, s60                                // 000000006FCC: 85143C24
	v_readlane_b32 s82, v3, 15                                 // 000000006FD0: D2890052 00011F03
	s_and_b32 s82, s82, 0xffffff                               // 000000006FD8: 8652FF52 00FFFFFF
	s_cmp_lt_u32 s82, s66                                      // 000000006FE0: BF0A4252
	s_cselect_b32 s21, s36, s60                                // 000000006FE4: 85153C24
	s_mov_b64 exec, s[20:21]                                   // 000000006FE8: BEFE0114
	global_atomic_add_f32 v6, v91, s[8:9] offset:8             // 000000006FEC: DD348008 00085B06
	s_mov_b64 exec, s[36:37]                                   // 000000006FF4: BEFE0124
	v_mov_b32_e32 v6, v66                                      // 000000006FF8: 7E0C0342
	s_mov_b64 s[60:61], 0                                      // 000000006FFC: BEBC0180
	v_readlane_b32 s82, v3, 16                                 // 000000007000: D2890052 00012103
	s_and_b32 s82, s82, 0xffffff                               // 000000007008: 8652FF52 00FFFFFF
	s_cmp_lt_u32 s82, s66                                      // 000000007010: BF0A4252
	s_cselect_b32 s20, s36, s60                                // 000000007014: 85143C24
	v_readlane_b32 s82, v3, 17                                 // 000000007018: D2890052 00012303
	s_and_b32 s82, s82, 0xffffff                               // 000000007020: 8652FF52 00FFFFFF
	s_cmp_lt_u32 s82, s66                                      // 000000007028: BF0A4252
	s_cselect_b32 s21, s36, s60                                // 00000000702C: 85153C24
	s_mov_b64 exec, s[20:21]                                   // 000000007030: BEFE0114
	global_atomic_add_f32 v6, v94, s[8:9] offset:8             // 000000007034: DD348008 00085E06
	s_mov_b64 exec, s[36:37]                                   // 00000000703C: BEFE0124
	v_mov_b32_e32 v6, v67                                      // 000000007040: 7E0C0343
	s_mov_b64 s[60:61], 0                                      // 000000007044: BEBC0180
	v_readlane_b32 s82, v3, 18                                 // 000000007048: D2890052 00012503
	s_and_b32 s82, s82, 0xffffff                               // 000000007050: 8652FF52 00FFFFFF
	s_cmp_lt_u32 s82, s66                                      // 000000007058: BF0A4252
	s_cselect_b32 s20, s36, s60                                // 00000000705C: 85143C24
	v_readlane_b32 s82, v3, 19                                 // 000000007060: D2890052 00012703
	s_and_b32 s82, s82, 0xffffff                               // 000000007068: 8652FF52 00FFFFFF
	s_cmp_lt_u32 s82, s66                                      // 000000007070: BF0A4252
	s_cselect_b32 s21, s36, s60                                // 000000007074: 85153C24
	s_mov_b64 exec, s[20:21]                                   // 000000007078: BEFE0114
	global_atomic_add_f32 v6, v95, s[8:9] offset:8             // 00000000707C: DD348008 00085F06
	s_mov_b64 exec, s[36:37]                                   // 000000007084: BEFE0124
	v_mov_b32_e32 v6, v68                                      // 000000007088: 7E0C0344
	s_mov_b64 s[60:61], 0                                      // 00000000708C: BEBC0180
	v_readlane_b32 s82, v3, 20                                 // 000000007090: D2890052 00012903
	s_and_b32 s82, s82, 0xffffff                               // 000000007098: 8652FF52 00FFFFFF
	s_cmp_lt_u32 s82, s66                                      // 0000000070A0: BF0A4252
	s_cselect_b32 s20, s36, s60                                // 0000000070A4: 85143C24
	v_readlane_b32 s82, v3, 21                                 // 0000000070A8: D2890052 00012B03
	s_and_b32 s82, s82, 0xffffff                               // 0000000070B0: 8652FF52 00FFFFFF
	s_cmp_lt_u32 s82, s66                                      // 0000000070B8: BF0A4252
	s_cselect_b32 s21, s36, s60                                // 0000000070BC: 85153C24
	s_mov_b64 exec, s[20:21]                                   // 0000000070C0: BEFE0114
	global_atomic_add_f32 v6, v98, s[8:9] offset:8             // 0000000070C4: DD348008 00086206
	s_mov_b64 exec, s[36:37]                                   // 0000000070CC: BEFE0124
	v_mov_b32_e32 v6, v69                                      // 0000000070D0: 7E0C0345
	s_mov_b64 s[60:61], 0                                      // 0000000070D4: BEBC0180
	v_readlane_b32 s82, v3, 22                                 // 0000000070D8: D2890052 00012D03
	s_and_b32 s82, s82, 0xffffff                               // 0000000070E0: 8652FF52 00FFFFFF
	s_cmp_lt_u32 s82, s66                                      // 0000000070E8: BF0A4252
	s_cselect_b32 s20, s36, s60                                // 0000000070EC: 85143C24
	v_readlane_b32 s82, v3, 23                                 // 0000000070F0: D2890052 00012F03
	s_and_b32 s82, s82, 0xffffff                               // 0000000070F8: 8652FF52 00FFFFFF
	s_cmp_lt_u32 s82, s66                                      // 000000007100: BF0A4252
	s_cselect_b32 s21, s36, s60                                // 000000007104: 85153C24
	s_mov_b64 exec, s[20:21]                                   // 000000007108: BEFE0114
	global_atomic_add_f32 v6, v99, s[8:9] offset:8             // 00000000710C: DD348008 00086306
	s_mov_b64 exec, s[36:37]                                   // 000000007114: BEFE0124
	v_mov_b32_e32 v6, v70                                      // 000000007118: 7E0C0346
	s_mov_b64 s[60:61], 0                                      // 00000000711C: BEBC0180
	v_readlane_b32 s82, v3, 24                                 // 000000007120: D2890052 00013103
	s_and_b32 s82, s82, 0xffffff                               // 000000007128: 8652FF52 00FFFFFF
	s_cmp_lt_u32 s82, s66                                      // 000000007130: BF0A4252
	s_cselect_b32 s20, s36, s60                                // 000000007134: 85143C24
	v_readlane_b32 s82, v3, 25                                 // 000000007138: D2890052 00013303
	s_and_b32 s82, s82, 0xffffff                               // 000000007140: 8652FF52 00FFFFFF
	s_cmp_lt_u32 s82, s66                                      // 000000007148: BF0A4252
	s_cselect_b32 s21, s36, s60                                // 00000000714C: 85153C24
	s_mov_b64 exec, s[20:21]                                   // 000000007150: BEFE0114
	global_atomic_add_f32 v6, v102, s[8:9] offset:8            // 000000007154: DD348008 00086606
	s_mov_b64 exec, s[36:37]                                   // 00000000715C: BEFE0124
	v_mov_b32_e32 v6, v71                                      // 000000007160: 7E0C0347
	s_mov_b64 s[60:61], 0                                      // 000000007164: BEBC0180
	v_readlane_b32 s82, v3, 26                                 // 000000007168: D2890052 00013503
	s_and_b32 s82, s82, 0xffffff                               // 000000007170: 8652FF52 00FFFFFF
	s_cmp_lt_u32 s82, s66                                      // 000000007178: BF0A4252
	s_cselect_b32 s20, s36, s60                                // 00000000717C: 85143C24
	v_readlane_b32 s82, v3, 27                                 // 000000007180: D2890052 00013703
	s_and_b32 s82, s82, 0xffffff                               // 000000007188: 8652FF52 00FFFFFF
	s_cmp_lt_u32 s82, s66                                      // 000000007190: BF0A4252
	s_cselect_b32 s21, s36, s60                                // 000000007194: 85153C24
	s_mov_b64 exec, s[20:21]                                   // 000000007198: BEFE0114
	global_atomic_add_f32 v6, v103, s[8:9] offset:8            // 00000000719C: DD348008 00086706
	s_mov_b64 exec, s[36:37]                                   // 0000000071A4: BEFE0124
	ds_write_b64 v20, v[104:105]                               // 0000000071A8: D89A0000 00006814
	ds_write_b64 v20, v[108:109] offset:2176                   // 0000000071B0: D89A0880 00006C14
	ds_write_b64 v20, v[112:113] offset:4352                   // 0000000071B8: D89A1100 00007014
	ds_write_b64 v20, v[116:117] offset:6528                   // 0000000071C0: D89A1980 00007414
	ds_write_b64 v20, v[120:121] offset:8704                   // 0000000071C8: D89A2200 00007814
	ds_write_b64 v20, v[124:125] offset:10880                  // 0000000071D0: D89A2A80 00007C14
	ds_write_b64 v20, v[128:129] offset:13056                  // 0000000071D8: D89A3300 00008014
	s_waitcnt lgkmcnt(0)                                       // 0000000071E0: BF8CC07F
	s_barrier                                                  // 0000000071E4: BF8A0000
	ds_read_b32 v104, v21                                      // 0000000071E8: D86C0000 68000015
	ds_read_b32 v105, v21 offset:64                            // 0000000071F0: D86C0040 69000015
	ds_read_b32 v108, v21 offset:2176                          // 0000000071F8: D86C0880 6C000015
	ds_read_b32 v109, v21 offset:2240                          // 000000007200: D86C08C0 6D000015
	ds_read_b32 v112, v21 offset:4352                          // 000000007208: D86C1100 70000015
	ds_read_b32 v113, v21 offset:4416                          // 000000007210: D86C1140 71000015
	ds_read_b32 v116, v21 offset:6528                          // 000000007218: D86C1980 74000015
	ds_read_b32 v117, v21 offset:6592                          // 000000007220: D86C19C0 75000015
	ds_read_b32 v120, v21 offset:8704                          // 000000007228: D86C2200 78000015
	ds_read_b32 v121, v21 offset:8768                          // 000000007230: D86C2240 79000015
	ds_read_b32 v124, v21 offset:10880                         // 000000007238: D86C2A80 7C000015
	ds_read_b32 v125, v21 offset:10944                         // 000000007240: D86C2AC0 7D000015
	ds_read_b32 v128, v21 offset:13056                         // 000000007248: D86C3300 80000015
	ds_read_b32 v129, v21 offset:13120                         // 000000007250: D86C3340 81000015
	s_mul_i32 s60, s65, 4                                      // 000000007258: 923C8441
	s_add_u32 s8, s60, s8                                      // 00000000725C: 8008083C
	s_addc_u32 s9, 0, s9                                       // 000000007260: 82090980
	s_waitcnt lgkmcnt(0)                                       // 000000007264: BF8CC07F
	v_mov_b32_e32 v7, 0                                        // 000000007268: 7E0E0280
	s_mov_b64 exec, s[36:37]                                   // 00000000726C: BEFE0124
	v_mov_b32_e32 v6, v58                                      // 000000007270: 7E0C033A
	s_mov_b64 s[60:61], 0                                      // 000000007274: BEBC0180
	v_readlane_b32 s82, v3, 0                                  // 000000007278: D2890052 00010103
	s_and_b32 s82, s82, 0xffffff                               // 000000007280: 8652FF52 00FFFFFF
	s_cmp_lt_u32 s82, s66                                      // 000000007288: BF0A4252
	s_cselect_b32 s20, s36, s60                                // 00000000728C: 85143C24
	v_readlane_b32 s82, v3, 1                                  // 000000007290: D2890052 00010303
	s_and_b32 s82, s82, 0xffffff                               // 000000007298: 8652FF52 00FFFFFF
	s_cmp_lt_u32 s82, s66                                      // 0000000072A0: BF0A4252
	s_cselect_b32 s21, s36, s60                                // 0000000072A4: 85153C24
	s_mov_b64 exec, s[20:21]                                   // 0000000072A8: BEFE0114
	global_atomic_add_f32 v6, v104, s[8:9]                     // 0000000072AC: DD348000 00086806
	s_mov_b64 exec, s[36:37]                                   // 0000000072B4: BEFE0124
	v_mov_b32_e32 v6, v59                                      // 0000000072B8: 7E0C033B
	s_mov_b64 s[60:61], 0                                      // 0000000072BC: BEBC0180
	v_readlane_b32 s82, v3, 2                                  // 0000000072C0: D2890052 00010503
	s_and_b32 s82, s82, 0xffffff                               // 0000000072C8: 8652FF52 00FFFFFF
	s_cmp_lt_u32 s82, s66                                      // 0000000072D0: BF0A4252
	s_cselect_b32 s20, s36, s60                                // 0000000072D4: 85143C24
	v_readlane_b32 s82, v3, 3                                  // 0000000072D8: D2890052 00010703
	s_and_b32 s82, s82, 0xffffff                               // 0000000072E0: 8652FF52 00FFFFFF
	s_cmp_lt_u32 s82, s66                                      // 0000000072E8: BF0A4252
	s_cselect_b32 s21, s36, s60                                // 0000000072EC: 85153C24
	s_mov_b64 exec, s[20:21]                                   // 0000000072F0: BEFE0114
	global_atomic_add_f32 v6, v105, s[8:9]                     // 0000000072F4: DD348000 00086906
	s_mov_b64 exec, s[36:37]                                   // 0000000072FC: BEFE0124
	v_mov_b32_e32 v6, v60                                      // 000000007300: 7E0C033C
	s_mov_b64 s[60:61], 0                                      // 000000007304: BEBC0180
	v_readlane_b32 s82, v3, 4                                  // 000000007308: D2890052 00010903
	s_and_b32 s82, s82, 0xffffff                               // 000000007310: 8652FF52 00FFFFFF
	s_cmp_lt_u32 s82, s66                                      // 000000007318: BF0A4252
	s_cselect_b32 s20, s36, s60                                // 00000000731C: 85143C24
	v_readlane_b32 s82, v3, 5                                  // 000000007320: D2890052 00010B03
	s_and_b32 s82, s82, 0xffffff                               // 000000007328: 8652FF52 00FFFFFF
	s_cmp_lt_u32 s82, s66                                      // 000000007330: BF0A4252
	s_cselect_b32 s21, s36, s60                                // 000000007334: 85153C24
	s_mov_b64 exec, s[20:21]                                   // 000000007338: BEFE0114
	global_atomic_add_f32 v6, v108, s[8:9]                     // 00000000733C: DD348000 00086C06
	s_mov_b64 exec, s[36:37]                                   // 000000007344: BEFE0124
	v_mov_b32_e32 v6, v61                                      // 000000007348: 7E0C033D
	s_mov_b64 s[60:61], 0                                      // 00000000734C: BEBC0180
	v_readlane_b32 s82, v3, 6                                  // 000000007350: D2890052 00010D03
	s_and_b32 s82, s82, 0xffffff                               // 000000007358: 8652FF52 00FFFFFF
	s_cmp_lt_u32 s82, s66                                      // 000000007360: BF0A4252
	s_cselect_b32 s20, s36, s60                                // 000000007364: 85143C24
	v_readlane_b32 s82, v3, 7                                  // 000000007368: D2890052 00010F03
	s_and_b32 s82, s82, 0xffffff                               // 000000007370: 8652FF52 00FFFFFF
	s_cmp_lt_u32 s82, s66                                      // 000000007378: BF0A4252
	s_cselect_b32 s21, s36, s60                                // 00000000737C: 85153C24
	s_mov_b64 exec, s[20:21]                                   // 000000007380: BEFE0114
	global_atomic_add_f32 v6, v109, s[8:9]                     // 000000007384: DD348000 00086D06
	s_mov_b64 exec, s[36:37]                                   // 00000000738C: BEFE0124
	v_mov_b32_e32 v6, v62                                      // 000000007390: 7E0C033E
	s_mov_b64 s[60:61], 0                                      // 000000007394: BEBC0180
	v_readlane_b32 s82, v3, 8                                  // 000000007398: D2890052 00011103
	s_and_b32 s82, s82, 0xffffff                               // 0000000073A0: 8652FF52 00FFFFFF
	s_cmp_lt_u32 s82, s66                                      // 0000000073A8: BF0A4252
	s_cselect_b32 s20, s36, s60                                // 0000000073AC: 85143C24
	v_readlane_b32 s82, v3, 9                                  // 0000000073B0: D2890052 00011303
	s_and_b32 s82, s82, 0xffffff                               // 0000000073B8: 8652FF52 00FFFFFF
	s_cmp_lt_u32 s82, s66                                      // 0000000073C0: BF0A4252
	s_cselect_b32 s21, s36, s60                                // 0000000073C4: 85153C24
	s_mov_b64 exec, s[20:21]                                   // 0000000073C8: BEFE0114
	global_atomic_add_f32 v6, v112, s[8:9]                     // 0000000073CC: DD348000 00087006
	s_mov_b64 exec, s[36:37]                                   // 0000000073D4: BEFE0124
	v_mov_b32_e32 v6, v63                                      // 0000000073D8: 7E0C033F
	s_mov_b64 s[60:61], 0                                      // 0000000073DC: BEBC0180
	v_readlane_b32 s82, v3, 10                                 // 0000000073E0: D2890052 00011503
	s_and_b32 s82, s82, 0xffffff                               // 0000000073E8: 8652FF52 00FFFFFF
	s_cmp_lt_u32 s82, s66                                      // 0000000073F0: BF0A4252
	s_cselect_b32 s20, s36, s60                                // 0000000073F4: 85143C24
	v_readlane_b32 s82, v3, 11                                 // 0000000073F8: D2890052 00011703
	s_and_b32 s82, s82, 0xffffff                               // 000000007400: 8652FF52 00FFFFFF
	s_cmp_lt_u32 s82, s66                                      // 000000007408: BF0A4252
	s_cselect_b32 s21, s36, s60                                // 00000000740C: 85153C24
	s_mov_b64 exec, s[20:21]                                   // 000000007410: BEFE0114
	global_atomic_add_f32 v6, v113, s[8:9]                     // 000000007414: DD348000 00087106
	s_mov_b64 exec, s[36:37]                                   // 00000000741C: BEFE0124
	v_mov_b32_e32 v6, v64                                      // 000000007420: 7E0C0340
	s_mov_b64 s[60:61], 0                                      // 000000007424: BEBC0180
	v_readlane_b32 s82, v3, 12                                 // 000000007428: D2890052 00011903
	s_and_b32 s82, s82, 0xffffff                               // 000000007430: 8652FF52 00FFFFFF
	s_cmp_lt_u32 s82, s66                                      // 000000007438: BF0A4252
	s_cselect_b32 s20, s36, s60                                // 00000000743C: 85143C24
	v_readlane_b32 s82, v3, 13                                 // 000000007440: D2890052 00011B03
	s_and_b32 s82, s82, 0xffffff                               // 000000007448: 8652FF52 00FFFFFF
	s_cmp_lt_u32 s82, s66                                      // 000000007450: BF0A4252
	s_cselect_b32 s21, s36, s60                                // 000000007454: 85153C24
	s_mov_b64 exec, s[20:21]                                   // 000000007458: BEFE0114
	global_atomic_add_f32 v6, v116, s[8:9]                     // 00000000745C: DD348000 00087406
	s_mov_b64 exec, s[36:37]                                   // 000000007464: BEFE0124
	v_mov_b32_e32 v6, v65                                      // 000000007468: 7E0C0341
	s_mov_b64 s[60:61], 0                                      // 00000000746C: BEBC0180
	v_readlane_b32 s82, v3, 14                                 // 000000007470: D2890052 00011D03
	s_and_b32 s82, s82, 0xffffff                               // 000000007478: 8652FF52 00FFFFFF
	s_cmp_lt_u32 s82, s66                                      // 000000007480: BF0A4252
	s_cselect_b32 s20, s36, s60                                // 000000007484: 85143C24
	v_readlane_b32 s82, v3, 15                                 // 000000007488: D2890052 00011F03
	s_and_b32 s82, s82, 0xffffff                               // 000000007490: 8652FF52 00FFFFFF
	s_cmp_lt_u32 s82, s66                                      // 000000007498: BF0A4252
	s_cselect_b32 s21, s36, s60                                // 00000000749C: 85153C24
	s_mov_b64 exec, s[20:21]                                   // 0000000074A0: BEFE0114
	global_atomic_add_f32 v6, v117, s[8:9]                     // 0000000074A4: DD348000 00087506
	s_mov_b64 exec, s[36:37]                                   // 0000000074AC: BEFE0124
	v_mov_b32_e32 v6, v66                                      // 0000000074B0: 7E0C0342
	s_mov_b64 s[60:61], 0                                      // 0000000074B4: BEBC0180
	v_readlane_b32 s82, v3, 16                                 // 0000000074B8: D2890052 00012103
	s_and_b32 s82, s82, 0xffffff                               // 0000000074C0: 8652FF52 00FFFFFF
	s_cmp_lt_u32 s82, s66                                      // 0000000074C8: BF0A4252
	s_cselect_b32 s20, s36, s60                                // 0000000074CC: 85143C24
	v_readlane_b32 s82, v3, 17                                 // 0000000074D0: D2890052 00012303
	s_and_b32 s82, s82, 0xffffff                               // 0000000074D8: 8652FF52 00FFFFFF
	s_cmp_lt_u32 s82, s66                                      // 0000000074E0: BF0A4252
	s_cselect_b32 s21, s36, s60                                // 0000000074E4: 85153C24
	s_mov_b64 exec, s[20:21]                                   // 0000000074E8: BEFE0114
	global_atomic_add_f32 v6, v120, s[8:9]                     // 0000000074EC: DD348000 00087806
	s_mov_b64 exec, s[36:37]                                   // 0000000074F4: BEFE0124
	v_mov_b32_e32 v6, v67                                      // 0000000074F8: 7E0C0343
	s_mov_b64 s[60:61], 0                                      // 0000000074FC: BEBC0180
	v_readlane_b32 s82, v3, 18                                 // 000000007500: D2890052 00012503
	s_and_b32 s82, s82, 0xffffff                               // 000000007508: 8652FF52 00FFFFFF
	s_cmp_lt_u32 s82, s66                                      // 000000007510: BF0A4252
	s_cselect_b32 s20, s36, s60                                // 000000007514: 85143C24
	v_readlane_b32 s82, v3, 19                                 // 000000007518: D2890052 00012703
	s_and_b32 s82, s82, 0xffffff                               // 000000007520: 8652FF52 00FFFFFF
	s_cmp_lt_u32 s82, s66                                      // 000000007528: BF0A4252
	s_cselect_b32 s21, s36, s60                                // 00000000752C: 85153C24
	s_mov_b64 exec, s[20:21]                                   // 000000007530: BEFE0114
	global_atomic_add_f32 v6, v121, s[8:9]                     // 000000007534: DD348000 00087906
	s_mov_b64 exec, s[36:37]                                   // 00000000753C: BEFE0124
	v_mov_b32_e32 v6, v68                                      // 000000007540: 7E0C0344
	s_mov_b64 s[60:61], 0                                      // 000000007544: BEBC0180
	v_readlane_b32 s82, v3, 20                                 // 000000007548: D2890052 00012903
	s_and_b32 s82, s82, 0xffffff                               // 000000007550: 8652FF52 00FFFFFF
	s_cmp_lt_u32 s82, s66                                      // 000000007558: BF0A4252
	s_cselect_b32 s20, s36, s60                                // 00000000755C: 85143C24
	v_readlane_b32 s82, v3, 21                                 // 000000007560: D2890052 00012B03
	s_and_b32 s82, s82, 0xffffff                               // 000000007568: 8652FF52 00FFFFFF
	s_cmp_lt_u32 s82, s66                                      // 000000007570: BF0A4252
	s_cselect_b32 s21, s36, s60                                // 000000007574: 85153C24
	s_mov_b64 exec, s[20:21]                                   // 000000007578: BEFE0114
	global_atomic_add_f32 v6, v124, s[8:9]                     // 00000000757C: DD348000 00087C06
	s_mov_b64 exec, s[36:37]                                   // 000000007584: BEFE0124
	v_mov_b32_e32 v6, v69                                      // 000000007588: 7E0C0345
	s_mov_b64 s[60:61], 0                                      // 00000000758C: BEBC0180
	v_readlane_b32 s82, v3, 22                                 // 000000007590: D2890052 00012D03
	s_and_b32 s82, s82, 0xffffff                               // 000000007598: 8652FF52 00FFFFFF
	s_cmp_lt_u32 s82, s66                                      // 0000000075A0: BF0A4252
	s_cselect_b32 s20, s36, s60                                // 0000000075A4: 85143C24
	v_readlane_b32 s82, v3, 23                                 // 0000000075A8: D2890052 00012F03
	s_and_b32 s82, s82, 0xffffff                               // 0000000075B0: 8652FF52 00FFFFFF
	s_cmp_lt_u32 s82, s66                                      // 0000000075B8: BF0A4252
	s_cselect_b32 s21, s36, s60                                // 0000000075BC: 85153C24
	s_mov_b64 exec, s[20:21]                                   // 0000000075C0: BEFE0114
	global_atomic_add_f32 v6, v125, s[8:9]                     // 0000000075C4: DD348000 00087D06
	s_mov_b64 exec, s[36:37]                                   // 0000000075CC: BEFE0124
	v_mov_b32_e32 v6, v70                                      // 0000000075D0: 7E0C0346
	s_mov_b64 s[60:61], 0                                      // 0000000075D4: BEBC0180
	v_readlane_b32 s82, v3, 24                                 // 0000000075D8: D2890052 00013103
	s_and_b32 s82, s82, 0xffffff                               // 0000000075E0: 8652FF52 00FFFFFF
	s_cmp_lt_u32 s82, s66                                      // 0000000075E8: BF0A4252
	s_cselect_b32 s20, s36, s60                                // 0000000075EC: 85143C24
	v_readlane_b32 s82, v3, 25                                 // 0000000075F0: D2890052 00013303
	s_and_b32 s82, s82, 0xffffff                               // 0000000075F8: 8652FF52 00FFFFFF
	s_cmp_lt_u32 s82, s66                                      // 000000007600: BF0A4252
	s_cselect_b32 s21, s36, s60                                // 000000007604: 85153C24
	s_mov_b64 exec, s[20:21]                                   // 000000007608: BEFE0114
	global_atomic_add_f32 v6, v128, s[8:9]                     // 00000000760C: DD348000 00088006
	s_mov_b64 exec, s[36:37]                                   // 000000007614: BEFE0124
	v_mov_b32_e32 v6, v71                                      // 000000007618: 7E0C0347
	s_mov_b64 s[60:61], 0                                      // 00000000761C: BEBC0180
	v_readlane_b32 s82, v3, 26                                 // 000000007620: D2890052 00013503
	s_and_b32 s82, s82, 0xffffff                               // 000000007628: 8652FF52 00FFFFFF
	s_cmp_lt_u32 s82, s66                                      // 000000007630: BF0A4252
	s_cselect_b32 s20, s36, s60                                // 000000007634: 85143C24
	v_readlane_b32 s82, v3, 27                                 // 000000007638: D2890052 00013703
	s_and_b32 s82, s82, 0xffffff                               // 000000007640: 8652FF52 00FFFFFF
	s_cmp_lt_u32 s82, s66                                      // 000000007648: BF0A4252
	s_cselect_b32 s21, s36, s60                                // 00000000764C: 85153C24
	s_mov_b64 exec, s[20:21]                                   // 000000007650: BEFE0114
	global_atomic_add_f32 v6, v129, s[8:9]                     // 000000007654: DD348000 00088106
	s_mov_b64 exec, s[36:37]                                   // 00000000765C: BEFE0124
	ds_write_b64 v20, v[106:107]                               // 000000007660: D89A0000 00006A14
	ds_write_b64 v20, v[110:111] offset:2176                   // 000000007668: D89A0880 00006E14
	ds_write_b64 v20, v[114:115] offset:4352                   // 000000007670: D89A1100 00007214
	ds_write_b64 v20, v[118:119] offset:6528                   // 000000007678: D89A1980 00007614
	ds_write_b64 v20, v[122:123] offset:8704                   // 000000007680: D89A2200 00007A14
	ds_write_b64 v20, v[126:127] offset:10880                  // 000000007688: D89A2A80 00007E14
	ds_write_b64 v20, v[130:131] offset:13056                  // 000000007690: D89A3300 00008214
	s_waitcnt lgkmcnt(0)                                       // 000000007698: BF8CC07F
	s_barrier                                                  // 00000000769C: BF8A0000
	ds_read_b32 v106, v21                                      // 0000000076A0: D86C0000 6A000015
	ds_read_b32 v107, v21 offset:64                            // 0000000076A8: D86C0040 6B000015
	ds_read_b32 v110, v21 offset:2176                          // 0000000076B0: D86C0880 6E000015
	ds_read_b32 v111, v21 offset:2240                          // 0000000076B8: D86C08C0 6F000015
	ds_read_b32 v114, v21 offset:4352                          // 0000000076C0: D86C1100 72000015
	ds_read_b32 v115, v21 offset:4416                          // 0000000076C8: D86C1140 73000015
	ds_read_b32 v118, v21 offset:6528                          // 0000000076D0: D86C1980 76000015
	ds_read_b32 v119, v21 offset:6592                          // 0000000076D8: D86C19C0 77000015
	ds_read_b32 v122, v21 offset:8704                          // 0000000076E0: D86C2200 7A000015
	ds_read_b32 v123, v21 offset:8768                          // 0000000076E8: D86C2240 7B000015
	ds_read_b32 v126, v21 offset:10880                         // 0000000076F0: D86C2A80 7E000015
	ds_read_b32 v127, v21 offset:10944                         // 0000000076F8: D86C2AC0 7F000015
	ds_read_b32 v130, v21 offset:13056                         // 000000007700: D86C3300 82000015
	ds_read_b32 v131, v21 offset:13120                         // 000000007708: D86C3340 83000015
	s_waitcnt lgkmcnt(0)                                       // 000000007710: BF8CC07F
	v_mov_b32_e32 v7, 0                                        // 000000007714: 7E0E0280
	s_mov_b64 exec, s[36:37]                                   // 000000007718: BEFE0124
	v_mov_b32_e32 v6, v58                                      // 00000000771C: 7E0C033A
	s_mov_b64 s[60:61], 0                                      // 000000007720: BEBC0180
	v_readlane_b32 s82, v3, 0                                  // 000000007724: D2890052 00010103
	s_and_b32 s82, s82, 0xffffff                               // 00000000772C: 8652FF52 00FFFFFF
	s_cmp_lt_u32 s82, s66                                      // 000000007734: BF0A4252
	s_cselect_b32 s20, s36, s60                                // 000000007738: 85143C24
	v_readlane_b32 s82, v3, 1                                  // 00000000773C: D2890052 00010303
	s_and_b32 s82, s82, 0xffffff                               // 000000007744: 8652FF52 00FFFFFF
	s_cmp_lt_u32 s82, s66                                      // 00000000774C: BF0A4252
	s_cselect_b32 s21, s36, s60                                // 000000007750: 85153C24
	s_mov_b64 exec, s[20:21]                                   // 000000007754: BEFE0114
	global_atomic_add_f32 v6, v106, s[8:9] offset:8            // 000000007758: DD348008 00086A06
	s_mov_b64 exec, s[36:37]                                   // 000000007760: BEFE0124
	v_mov_b32_e32 v6, v59                                      // 000000007764: 7E0C033B
	s_mov_b64 s[60:61], 0                                      // 000000007768: BEBC0180
	v_readlane_b32 s82, v3, 2                                  // 00000000776C: D2890052 00010503
	s_and_b32 s82, s82, 0xffffff                               // 000000007774: 8652FF52 00FFFFFF
	s_cmp_lt_u32 s82, s66                                      // 00000000777C: BF0A4252
	s_cselect_b32 s20, s36, s60                                // 000000007780: 85143C24
	v_readlane_b32 s82, v3, 3                                  // 000000007784: D2890052 00010703
	s_and_b32 s82, s82, 0xffffff                               // 00000000778C: 8652FF52 00FFFFFF
	s_cmp_lt_u32 s82, s66                                      // 000000007794: BF0A4252
	s_cselect_b32 s21, s36, s60                                // 000000007798: 85153C24
	s_mov_b64 exec, s[20:21]                                   // 00000000779C: BEFE0114
	global_atomic_add_f32 v6, v107, s[8:9] offset:8            // 0000000077A0: DD348008 00086B06
	s_mov_b64 exec, s[36:37]                                   // 0000000077A8: BEFE0124
	v_mov_b32_e32 v6, v60                                      // 0000000077AC: 7E0C033C
	s_mov_b64 s[60:61], 0                                      // 0000000077B0: BEBC0180
	v_readlane_b32 s82, v3, 4                                  // 0000000077B4: D2890052 00010903
	s_and_b32 s82, s82, 0xffffff                               // 0000000077BC: 8652FF52 00FFFFFF
	s_cmp_lt_u32 s82, s66                                      // 0000000077C4: BF0A4252
	s_cselect_b32 s20, s36, s60                                // 0000000077C8: 85143C24
	v_readlane_b32 s82, v3, 5                                  // 0000000077CC: D2890052 00010B03
	s_and_b32 s82, s82, 0xffffff                               // 0000000077D4: 8652FF52 00FFFFFF
	s_cmp_lt_u32 s82, s66                                      // 0000000077DC: BF0A4252
	s_cselect_b32 s21, s36, s60                                // 0000000077E0: 85153C24
	s_mov_b64 exec, s[20:21]                                   // 0000000077E4: BEFE0114
	global_atomic_add_f32 v6, v110, s[8:9] offset:8            // 0000000077E8: DD348008 00086E06
	s_mov_b64 exec, s[36:37]                                   // 0000000077F0: BEFE0124
	v_mov_b32_e32 v6, v61                                      // 0000000077F4: 7E0C033D
	s_mov_b64 s[60:61], 0                                      // 0000000077F8: BEBC0180
	v_readlane_b32 s82, v3, 6                                  // 0000000077FC: D2890052 00010D03
	s_and_b32 s82, s82, 0xffffff                               // 000000007804: 8652FF52 00FFFFFF
	s_cmp_lt_u32 s82, s66                                      // 00000000780C: BF0A4252
	s_cselect_b32 s20, s36, s60                                // 000000007810: 85143C24
	v_readlane_b32 s82, v3, 7                                  // 000000007814: D2890052 00010F03
	s_and_b32 s82, s82, 0xffffff                               // 00000000781C: 8652FF52 00FFFFFF
	s_cmp_lt_u32 s82, s66                                      // 000000007824: BF0A4252
	s_cselect_b32 s21, s36, s60                                // 000000007828: 85153C24
	s_mov_b64 exec, s[20:21]                                   // 00000000782C: BEFE0114
	global_atomic_add_f32 v6, v111, s[8:9] offset:8            // 000000007830: DD348008 00086F06
	s_mov_b64 exec, s[36:37]                                   // 000000007838: BEFE0124
	v_mov_b32_e32 v6, v62                                      // 00000000783C: 7E0C033E
	s_mov_b64 s[60:61], 0                                      // 000000007840: BEBC0180
	v_readlane_b32 s82, v3, 8                                  // 000000007844: D2890052 00011103
	s_and_b32 s82, s82, 0xffffff                               // 00000000784C: 8652FF52 00FFFFFF
	s_cmp_lt_u32 s82, s66                                      // 000000007854: BF0A4252
	s_cselect_b32 s20, s36, s60                                // 000000007858: 85143C24
	v_readlane_b32 s82, v3, 9                                  // 00000000785C: D2890052 00011303
	s_and_b32 s82, s82, 0xffffff                               // 000000007864: 8652FF52 00FFFFFF
	s_cmp_lt_u32 s82, s66                                      // 00000000786C: BF0A4252
	s_cselect_b32 s21, s36, s60                                // 000000007870: 85153C24
	s_mov_b64 exec, s[20:21]                                   // 000000007874: BEFE0114
	global_atomic_add_f32 v6, v114, s[8:9] offset:8            // 000000007878: DD348008 00087206
	s_mov_b64 exec, s[36:37]                                   // 000000007880: BEFE0124
	v_mov_b32_e32 v6, v63                                      // 000000007884: 7E0C033F
	s_mov_b64 s[60:61], 0                                      // 000000007888: BEBC0180
	v_readlane_b32 s82, v3, 10                                 // 00000000788C: D2890052 00011503
	s_and_b32 s82, s82, 0xffffff                               // 000000007894: 8652FF52 00FFFFFF
	s_cmp_lt_u32 s82, s66                                      // 00000000789C: BF0A4252
	s_cselect_b32 s20, s36, s60                                // 0000000078A0: 85143C24
	v_readlane_b32 s82, v3, 11                                 // 0000000078A4: D2890052 00011703
	s_and_b32 s82, s82, 0xffffff                               // 0000000078AC: 8652FF52 00FFFFFF
	s_cmp_lt_u32 s82, s66                                      // 0000000078B4: BF0A4252
	s_cselect_b32 s21, s36, s60                                // 0000000078B8: 85153C24
	s_mov_b64 exec, s[20:21]                                   // 0000000078BC: BEFE0114
	global_atomic_add_f32 v6, v115, s[8:9] offset:8            // 0000000078C0: DD348008 00087306
	s_mov_b64 exec, s[36:37]                                   // 0000000078C8: BEFE0124
	v_mov_b32_e32 v6, v64                                      // 0000000078CC: 7E0C0340
	s_mov_b64 s[60:61], 0                                      // 0000000078D0: BEBC0180
	v_readlane_b32 s82, v3, 12                                 // 0000000078D4: D2890052 00011903
	s_and_b32 s82, s82, 0xffffff                               // 0000000078DC: 8652FF52 00FFFFFF
	s_cmp_lt_u32 s82, s66                                      // 0000000078E4: BF0A4252
	s_cselect_b32 s20, s36, s60                                // 0000000078E8: 85143C24
	v_readlane_b32 s82, v3, 13                                 // 0000000078EC: D2890052 00011B03
	s_and_b32 s82, s82, 0xffffff                               // 0000000078F4: 8652FF52 00FFFFFF
	s_cmp_lt_u32 s82, s66                                      // 0000000078FC: BF0A4252
	s_cselect_b32 s21, s36, s60                                // 000000007900: 85153C24
	s_mov_b64 exec, s[20:21]                                   // 000000007904: BEFE0114
	global_atomic_add_f32 v6, v118, s[8:9] offset:8            // 000000007908: DD348008 00087606
	s_mov_b64 exec, s[36:37]                                   // 000000007910: BEFE0124
	v_mov_b32_e32 v6, v65                                      // 000000007914: 7E0C0341
	s_mov_b64 s[60:61], 0                                      // 000000007918: BEBC0180
	v_readlane_b32 s82, v3, 14                                 // 00000000791C: D2890052 00011D03
	s_and_b32 s82, s82, 0xffffff                               // 000000007924: 8652FF52 00FFFFFF
	s_cmp_lt_u32 s82, s66                                      // 00000000792C: BF0A4252
	s_cselect_b32 s20, s36, s60                                // 000000007930: 85143C24
	v_readlane_b32 s82, v3, 15                                 // 000000007934: D2890052 00011F03
	s_and_b32 s82, s82, 0xffffff                               // 00000000793C: 8652FF52 00FFFFFF
	s_cmp_lt_u32 s82, s66                                      // 000000007944: BF0A4252
	s_cselect_b32 s21, s36, s60                                // 000000007948: 85153C24
	s_mov_b64 exec, s[20:21]                                   // 00000000794C: BEFE0114
	global_atomic_add_f32 v6, v119, s[8:9] offset:8            // 000000007950: DD348008 00087706
	s_mov_b64 exec, s[36:37]                                   // 000000007958: BEFE0124
	v_mov_b32_e32 v6, v66                                      // 00000000795C: 7E0C0342
	s_mov_b64 s[60:61], 0                                      // 000000007960: BEBC0180
	v_readlane_b32 s82, v3, 16                                 // 000000007964: D2890052 00012103
	s_and_b32 s82, s82, 0xffffff                               // 00000000796C: 8652FF52 00FFFFFF
	s_cmp_lt_u32 s82, s66                                      // 000000007974: BF0A4252
	s_cselect_b32 s20, s36, s60                                // 000000007978: 85143C24
	v_readlane_b32 s82, v3, 17                                 // 00000000797C: D2890052 00012303
	s_and_b32 s82, s82, 0xffffff                               // 000000007984: 8652FF52 00FFFFFF
	s_cmp_lt_u32 s82, s66                                      // 00000000798C: BF0A4252
	s_cselect_b32 s21, s36, s60                                // 000000007990: 85153C24
	s_mov_b64 exec, s[20:21]                                   // 000000007994: BEFE0114
	global_atomic_add_f32 v6, v122, s[8:9] offset:8            // 000000007998: DD348008 00087A06
	s_mov_b64 exec, s[36:37]                                   // 0000000079A0: BEFE0124
	v_mov_b32_e32 v6, v67                                      // 0000000079A4: 7E0C0343
	s_mov_b64 s[60:61], 0                                      // 0000000079A8: BEBC0180
	v_readlane_b32 s82, v3, 18                                 // 0000000079AC: D2890052 00012503
	s_and_b32 s82, s82, 0xffffff                               // 0000000079B4: 8652FF52 00FFFFFF
	s_cmp_lt_u32 s82, s66                                      // 0000000079BC: BF0A4252
	s_cselect_b32 s20, s36, s60                                // 0000000079C0: 85143C24
	v_readlane_b32 s82, v3, 19                                 // 0000000079C4: D2890052 00012703
	s_and_b32 s82, s82, 0xffffff                               // 0000000079CC: 8652FF52 00FFFFFF
	s_cmp_lt_u32 s82, s66                                      // 0000000079D4: BF0A4252
	s_cselect_b32 s21, s36, s60                                // 0000000079D8: 85153C24
	s_mov_b64 exec, s[20:21]                                   // 0000000079DC: BEFE0114
	global_atomic_add_f32 v6, v123, s[8:9] offset:8            // 0000000079E0: DD348008 00087B06
	s_mov_b64 exec, s[36:37]                                   // 0000000079E8: BEFE0124
	v_mov_b32_e32 v6, v68                                      // 0000000079EC: 7E0C0344
	s_mov_b64 s[60:61], 0                                      // 0000000079F0: BEBC0180
	v_readlane_b32 s82, v3, 20                                 // 0000000079F4: D2890052 00012903
	s_and_b32 s82, s82, 0xffffff                               // 0000000079FC: 8652FF52 00FFFFFF
	s_cmp_lt_u32 s82, s66                                      // 000000007A04: BF0A4252
	s_cselect_b32 s20, s36, s60                                // 000000007A08: 85143C24
	v_readlane_b32 s82, v3, 21                                 // 000000007A0C: D2890052 00012B03
	s_and_b32 s82, s82, 0xffffff                               // 000000007A14: 8652FF52 00FFFFFF
	s_cmp_lt_u32 s82, s66                                      // 000000007A1C: BF0A4252
	s_cselect_b32 s21, s36, s60                                // 000000007A20: 85153C24
	s_mov_b64 exec, s[20:21]                                   // 000000007A24: BEFE0114
	global_atomic_add_f32 v6, v126, s[8:9] offset:8            // 000000007A28: DD348008 00087E06
	s_mov_b64 exec, s[36:37]                                   // 000000007A30: BEFE0124
	v_mov_b32_e32 v6, v69                                      // 000000007A34: 7E0C0345
	s_mov_b64 s[60:61], 0                                      // 000000007A38: BEBC0180
	v_readlane_b32 s82, v3, 22                                 // 000000007A3C: D2890052 00012D03
	s_and_b32 s82, s82, 0xffffff                               // 000000007A44: 8652FF52 00FFFFFF
	s_cmp_lt_u32 s82, s66                                      // 000000007A4C: BF0A4252
	s_cselect_b32 s20, s36, s60                                // 000000007A50: 85143C24
	v_readlane_b32 s82, v3, 23                                 // 000000007A54: D2890052 00012F03
	s_and_b32 s82, s82, 0xffffff                               // 000000007A5C: 8652FF52 00FFFFFF
	s_cmp_lt_u32 s82, s66                                      // 000000007A64: BF0A4252
	s_cselect_b32 s21, s36, s60                                // 000000007A68: 85153C24
	s_mov_b64 exec, s[20:21]                                   // 000000007A6C: BEFE0114
	global_atomic_add_f32 v6, v127, s[8:9] offset:8            // 000000007A70: DD348008 00087F06
	s_mov_b64 exec, s[36:37]                                   // 000000007A78: BEFE0124
	v_mov_b32_e32 v6, v70                                      // 000000007A7C: 7E0C0346
	s_mov_b64 s[60:61], 0                                      // 000000007A80: BEBC0180
	v_readlane_b32 s82, v3, 24                                 // 000000007A84: D2890052 00013103
	s_and_b32 s82, s82, 0xffffff                               // 000000007A8C: 8652FF52 00FFFFFF
	s_cmp_lt_u32 s82, s66                                      // 000000007A94: BF0A4252
	s_cselect_b32 s20, s36, s60                                // 000000007A98: 85143C24
	v_readlane_b32 s82, v3, 25                                 // 000000007A9C: D2890052 00013303
	s_and_b32 s82, s82, 0xffffff                               // 000000007AA4: 8652FF52 00FFFFFF
	s_cmp_lt_u32 s82, s66                                      // 000000007AAC: BF0A4252
	s_cselect_b32 s21, s36, s60                                // 000000007AB0: 85153C24
	s_mov_b64 exec, s[20:21]                                   // 000000007AB4: BEFE0114
	global_atomic_add_f32 v6, v130, s[8:9] offset:8            // 000000007AB8: DD348008 00088206
	s_mov_b64 exec, s[36:37]                                   // 000000007AC0: BEFE0124
	v_mov_b32_e32 v6, v71                                      // 000000007AC4: 7E0C0347
	s_mov_b64 s[60:61], 0                                      // 000000007AC8: BEBC0180
	v_readlane_b32 s82, v3, 26                                 // 000000007ACC: D2890052 00013503
	s_and_b32 s82, s82, 0xffffff                               // 000000007AD4: 8652FF52 00FFFFFF
	s_cmp_lt_u32 s82, s66                                      // 000000007ADC: BF0A4252
	s_cselect_b32 s20, s36, s60                                // 000000007AE0: 85143C24
	v_readlane_b32 s82, v3, 27                                 // 000000007AE4: D2890052 00013703
	s_and_b32 s82, s82, 0xffffff                               // 000000007AEC: 8652FF52 00FFFFFF
	s_cmp_lt_u32 s82, s66                                      // 000000007AF4: BF0A4252
	s_cselect_b32 s21, s36, s60                                // 000000007AF8: 85153C24
	s_mov_b64 exec, s[20:21]                                   // 000000007AFC: BEFE0114
	global_atomic_add_f32 v6, v131, s[8:9] offset:8            // 000000007B00: DD348008 00088306
	s_mov_b64 exec, s[36:37]                                   // 000000007B08: BEFE0124
	s_branch label_257F                                        // 000000007B0C: BF821138

0000000000007b10 <label_1447>:
	s_waitcnt vmcnt(16) lgkmcnt(0)                             // 000000007B10: BF8C4070
	v_mfma_f32_16x16x32_fp8_fp8 v[76:79], a[112:113], a[0:1], v[76:79]// 000000007B14: D3F3004C 1D320170
	buffer_load_dwordx4 a[128:131], v72, s[24:27], 0 offen     // 000000007B1C: E05C1000 80868048
	v_mfma_f32_16x16x32_fp8_fp8 v[76:79], a[114:115], a[2:3], v[76:79]// 000000007B24: D3F3004C 1D320572
	v_mfma_f32_16x16x32_fp8_fp8 v[76:79], a[116:117], a[4:5], v[76:79]// 000000007B2C: D3F3004C 1D320974
	v_mfma_f32_16x16x32_fp8_fp8 v[76:79], a[118:119], a[6:7], v[76:79]// 000000007B34: D3F3004C 1D320D76
	v_mfma_f32_16x16x32_fp8_fp8 v[80:83], a[112:113], a[8:9], v[80:83]// 000000007B3C: D3F30050 1D421170
	buffer_load_dwordx4 a[132:135], v72, s[24:27], 0 offen offset:1024// 000000007B44: E05C1400 80868448
	buffer_load_dword v58, s[20:23], 0 offen lds               // 000000007B4C: E0511000 8005003A
	s_add_u32 m0, 0x100, s50                                   // 000000007B54: 807C32FF 00000100
	v_mfma_f32_16x16x32_fp8_fp8 v[80:83], a[114:115], a[10:11], v[80:83]// 000000007B5C: D3F30050 1D421572
	v_mfma_f32_16x16x32_fp8_fp8 v[80:83], a[116:117], a[12:13], v[80:83]// 000000007B64: D3F30050 1D421974
	buffer_load_dword v59, s[20:23], 0 offen lds               // 000000007B6C: E0511000 8005003B
	s_add_u32 m0, 0x200, s50                                   // 000000007B74: 807C32FF 00000200
	v_mfma_f32_16x16x32_fp8_fp8 v[80:83], a[118:119], a[14:15], v[80:83]// 000000007B7C: D3F30050 1D421D76
	v_mfma_f32_16x16x32_fp8_fp8 v[84:87], a[112:113], a[16:17], v[84:87]// 000000007B84: D3F30054 1D522170
	buffer_load_dword v60, s[20:23], 0 offen lds               // 000000007B8C: E0511000 8005003C
	s_add_u32 m0, 0x300, s50                                   // 000000007B94: 807C32FF 00000300
	v_mfma_f32_16x16x32_fp8_fp8 v[84:87], a[114:115], a[18:19], v[84:87]// 000000007B9C: D3F30054 1D522572
	v_mfma_f32_16x16x32_fp8_fp8 v[84:87], a[116:117], a[20:21], v[84:87]// 000000007BA4: D3F30054 1D522974
	buffer_load_dword v61, s[20:23], 0 offen lds               // 000000007BAC: E0511000 8005003D
	s_add_u32 m0, 0x400, s50                                   // 000000007BB4: 807C32FF 00000400
	v_mfma_f32_16x16x32_fp8_fp8 v[84:87], a[118:119], a[22:23], v[84:87]// 000000007BBC: D3F30054 1D522D76
	v_mfma_f32_16x16x32_fp8_fp8 v[88:91], a[112:113], a[24:25], v[88:91]// 000000007BC4: D3F30058 1D623170
	buffer_load_dword v62, s[20:23], 0 offen lds               // 000000007BCC: E0511000 8005003E
	s_add_u32 m0, 0x500, s50                                   // 000000007BD4: 807C32FF 00000500
	v_mfma_f32_16x16x32_fp8_fp8 v[88:91], a[114:115], a[26:27], v[88:91]// 000000007BDC: D3F30058 1D623572
	v_mfma_f32_16x16x32_fp8_fp8 v[88:91], a[116:117], a[28:29], v[88:91]// 000000007BE4: D3F30058 1D623974
	buffer_load_dword v63, s[20:23], 0 offen lds               // 000000007BEC: E0511000 8005003F
	s_add_u32 m0, 0x600, s50                                   // 000000007BF4: 807C32FF 00000600
	v_mfma_f32_16x16x32_fp8_fp8 v[88:91], a[118:119], a[30:31], v[88:91]// 000000007BFC: D3F30058 1D623D76
	v_mfma_f32_16x16x32_fp8_fp8 v[92:95], a[112:113], a[32:33], v[92:95]// 000000007C04: D3F3005C 1D724170
	buffer_load_dword v64, s[20:23], 0 offen lds               // 000000007C0C: E0511000 80050040
	s_add_u32 m0, 0x700, s50                                   // 000000007C14: 807C32FF 00000700
	v_mfma_f32_16x16x32_fp8_fp8 v[92:95], a[114:115], a[34:35], v[92:95]// 000000007C1C: D3F3005C 1D724572
	v_mfma_f32_16x16x32_fp8_fp8 v[92:95], a[116:117], a[36:37], v[92:95]// 000000007C24: D3F3005C 1D724974
	buffer_load_dword v65, s[20:23], 0 offen lds               // 000000007C2C: E0511000 80050041
	s_add_u32 m0, 0x800, s50                                   // 000000007C34: 807C32FF 00000800
	v_mfma_f32_16x16x32_fp8_fp8 v[92:95], a[118:119], a[38:39], v[92:95]// 000000007C3C: D3F3005C 1D724D76
	v_mfma_f32_16x16x32_fp8_fp8 v[96:99], a[112:113], a[40:41], v[96:99]// 000000007C44: D3F30060 1D825170
	buffer_load_dword v66, s[20:23], 0 offen lds               // 000000007C4C: E0511000 80050042
	s_add_u32 m0, 0x900, s50                                   // 000000007C54: 807C32FF 00000900
	v_mfma_f32_16x16x32_fp8_fp8 v[96:99], a[114:115], a[42:43], v[96:99]// 000000007C5C: D3F30060 1D825572
	v_mfma_f32_16x16x32_fp8_fp8 v[96:99], a[116:117], a[44:45], v[96:99]// 000000007C64: D3F30060 1D825974
	buffer_load_dword v67, s[20:23], 0 offen lds               // 000000007C6C: E0511000 80050043
	s_add_u32 m0, 0xa00, s50                                   // 000000007C74: 807C32FF 00000A00
	v_mfma_f32_16x16x32_fp8_fp8 v[96:99], a[118:119], a[46:47], v[96:99]// 000000007C7C: D3F30060 1D825D76
	v_mfma_f32_16x16x32_fp8_fp8 v[100:103], a[112:113], a[48:49], v[100:103]// 000000007C84: D3F30064 1D926170
	buffer_load_dword v68, s[20:23], 0 offen lds               // 000000007C8C: E0511000 80050044
	s_add_u32 m0, 0xb00, s50                                   // 000000007C94: 807C32FF 00000B00
	v_mfma_f32_16x16x32_fp8_fp8 v[100:103], a[114:115], a[50:51], v[100:103]// 000000007C9C: D3F30064 1D926572
	v_mfma_f32_16x16x32_fp8_fp8 v[100:103], a[116:117], a[52:53], v[100:103]// 000000007CA4: D3F30064 1D926974
	buffer_load_dword v69, s[20:23], 0 offen lds               // 000000007CAC: E0511000 80050045
	s_add_u32 m0, 0xc00, s50                                   // 000000007CB4: 807C32FF 00000C00
	v_mfma_f32_16x16x32_fp8_fp8 v[100:103], a[118:119], a[54:55], v[100:103]// 000000007CBC: D3F30064 1D926D76
	buffer_load_dword v70, s[20:23], 0 offen lds               // 000000007CC4: E0511000 80050046
	s_add_u32 m0, 0xd00, s50                                   // 000000007CCC: 807C32FF 00000D00
	buffer_load_dword v71, s[20:23], 0 offen lds               // 000000007CD4: E0511000 80050047
	s_add_u32 m0, 0, s48                                       // 000000007CDC: 807C3080
	s_waitcnt vmcnt(16)                                        // 000000007CE0: BF8C4F70
	s_barrier                                                  // 000000007CE4: BF8A0000
	v_mfma_f32_16x16x32_fp8_fp8 v[104:107], a[120:121], a[0:1], v[104:107]// 000000007CE8: D3F30068 1DA20178
	buffer_load_dwordx4 a[112:115], v72, s[84:87], 0 offen     // 000000007CF0: E05C1000 80957048
	v_mfma_f32_16x16x32_fp8_fp8 v[104:107], a[122:123], a[2:3], v[104:107]// 000000007CF8: D3F30068 1DA2057A
	v_mfma_f32_16x16x32_fp8_fp8 v[104:107], a[124:125], a[4:5], v[104:107]// 000000007D00: D3F30068 1DA2097C
	ds_read_b128 a[56:59], v2 offset:14464                     // 000000007D08: DBFE3880 38000002
	ds_read_b128 a[60:63], v2 offset:14528                     // 000000007D10: DBFE38C0 3C000002
	v_mfma_f32_16x16x32_fp8_fp8 v[104:107], a[126:127], a[6:7], v[104:107]// 000000007D18: D3F30068 1DA20D7E
	v_mfma_f32_16x16x32_fp8_fp8 v[108:111], a[120:121], a[8:9], v[108:111]// 000000007D20: D3F3006C 1DB21178
	buffer_load_dwordx4 a[116:119], v72, s[84:87], 0 offen offset:1024// 000000007D28: E05C1400 80957448
	v_mfma_f32_16x16x32_fp8_fp8 v[108:111], a[122:123], a[10:11], v[108:111]// 000000007D30: D3F3006C 1DB2157A
	v_mfma_f32_16x16x32_fp8_fp8 v[108:111], a[124:125], a[12:13], v[108:111]// 000000007D38: D3F3006C 1DB2197C
	ds_read_b128 a[64:67], v2 offset:14976                     // 000000007D40: DBFE3A80 40000002
	ds_read_b128 a[68:71], v2 offset:15040                     // 000000007D48: DBFE3AC0 44000002
	v_mfma_f32_16x16x32_fp8_fp8 v[108:111], a[126:127], a[14:15], v[108:111]// 000000007D50: D3F3006C 1DB21D7E
	v_mfma_f32_16x16x32_fp8_fp8 v[112:115], a[120:121], a[16:17], v[112:115]// 000000007D58: D3F30070 1DC22178
	v_mfma_f32_16x16x32_fp8_fp8 v[112:115], a[122:123], a[18:19], v[112:115]// 000000007D60: D3F30070 1DC2257A
	v_mfma_f32_16x16x32_fp8_fp8 v[112:115], a[124:125], a[20:21], v[112:115]// 000000007D68: D3F30070 1DC2297C
	ds_read_b128 a[72:75], v2 offset:15488                     // 000000007D70: DBFE3C80 48000002
	ds_read_b128 a[76:79], v2 offset:15552                     // 000000007D78: DBFE3CC0 4C000002
	v_mfma_f32_16x16x32_fp8_fp8 v[112:115], a[126:127], a[22:23], v[112:115]// 000000007D80: D3F30070 1DC22D7E
	v_mfma_f32_16x16x32_fp8_fp8 v[116:119], a[120:121], a[24:25], v[116:119]// 000000007D88: D3F30074 1DD23178
	v_mfma_f32_16x16x32_fp8_fp8 v[116:119], a[122:123], a[26:27], v[116:119]// 000000007D90: D3F30074 1DD2357A
	v_mfma_f32_16x16x32_fp8_fp8 v[116:119], a[124:125], a[28:29], v[116:119]// 000000007D98: D3F30074 1DD2397C
	ds_read_b128 a[80:83], v2 offset:16000                     // 000000007DA0: DBFE3E80 50000002
	ds_read_b128 a[84:87], v2 offset:16064                     // 000000007DA8: DBFE3EC0 54000002
	v_mfma_f32_16x16x32_fp8_fp8 v[116:119], a[126:127], a[30:31], v[116:119]// 000000007DB0: D3F30074 1DD23D7E
	v_mfma_f32_16x16x32_fp8_fp8 v[120:123], a[120:121], a[32:33], v[120:123]// 000000007DB8: D3F30078 1DE24178
	v_mfma_f32_16x16x32_fp8_fp8 v[120:123], a[122:123], a[34:35], v[120:123]// 000000007DC0: D3F30078 1DE2457A
	v_mfma_f32_16x16x32_fp8_fp8 v[120:123], a[124:125], a[36:37], v[120:123]// 000000007DC8: D3F30078 1DE2497C
	ds_read_b128 a[88:91], v2 offset:16512                     // 000000007DD0: DBFE4080 58000002
	ds_read_b128 a[92:95], v2 offset:16576                     // 000000007DD8: DBFE40C0 5C000002
	v_mfma_f32_16x16x32_fp8_fp8 v[120:123], a[126:127], a[38:39], v[120:123]// 000000007DE0: D3F30078 1DE24D7E
	v_mfma_f32_16x16x32_fp8_fp8 v[124:127], a[120:121], a[40:41], v[124:127]// 000000007DE8: D3F3007C 1DF25178
	s_add_u32 s60, 0x180, s80                                  // 000000007DF0: 803C50FF 00000180
	s_cmp_lt_u32 s60, s81                                      // 000000007DF8: BF0A513C
	s_cselect_b32 s57, s57, 0                                  // 000000007DFC: 85398039
	v_mfma_f32_16x16x32_fp8_fp8 v[124:127], a[122:123], a[42:43], v[124:127]// 000000007E00: D3F3007C 1DF2557A
	s_add_u32 s60, 0x100, s80                                  // 000000007E08: 803C50FF 00000100
	s_cmp_lt_u32 s60, s81                                      // 000000007E10: BF0A513C
	s_cselect_b32 s58, s58, 0                                  // 000000007E14: 853A803A
	v_mfma_f32_16x16x32_fp8_fp8 v[124:127], a[124:125], a[44:45], v[124:127]// 000000007E18: D3F3007C 1DF2597C
	ds_read_b128 a[96:99], v2 offset:17024                     // 000000007E20: DBFE4280 60000002
	ds_read_b128 a[100:103], v2 offset:17088                   // 000000007E28: DBFE42C0 64000002
	s_add_u32 s60, 0x100, s80                                  // 000000007E30: 803C50FF 00000100
	s_cmp_lt_u32 s60, s81                                      // 000000007E38: BF0A513C
	s_cselect_b32 s83, s83, 0                                  // 000000007E3C: 85538053
	v_mfma_f32_16x16x32_fp8_fp8 v[124:127], a[126:127], a[46:47], v[124:127]// 000000007E40: D3F3007C 1DF25D7E
	s_add_u32 s24, s58, s24                                    // 000000007E48: 8018183A
	s_addc_u32 s25, 0, s25                                     // 000000007E4C: 82191980
	v_mfma_f32_16x16x32_fp8_fp8 v[128:131], a[120:121], a[48:49], v[128:131]// 000000007E50: D3F30080 1E026178
	s_add_u32 s20, s57, s20                                    // 000000007E58: 80141439
	s_addc_u32 s21, 0, s21                                     // 000000007E5C: 82151580
	v_mfma_f32_16x16x32_fp8_fp8 v[128:131], a[122:123], a[50:51], v[128:131]// 000000007E60: D3F30080 1E02657A
	s_add_u32 s84, s83, s84                                    // 000000007E68: 80545453
	s_addc_u32 s85, 0, s85                                     // 000000007E6C: 82555580
	v_mfma_f32_16x16x32_fp8_fp8 v[128:131], a[124:125], a[52:53], v[128:131]// 000000007E70: D3F30080 1E02697C
	ds_read_b128 a[104:107], v2 offset:17536                   // 000000007E78: DBFE4480 68000002
	ds_read_b128 a[108:111], v2 offset:17600                   // 000000007E80: DBFE44C0 6C000002
	v_mfma_f32_16x16x32_fp8_fp8 v[128:131], a[126:127], a[54:55], v[128:131]// 000000007E88: D3F30080 1E026D7E
	s_addk_i32 s80, 0x80                                       // 000000007E90: B7500080
	s_cmp_lt_i32 s80, s81                                      // 000000007E94: BF045150
	s_cbranch_scc0 label_199A                                  // 000000007E98: BF840470
	s_waitcnt vmcnt(16) lgkmcnt(0)                             // 000000007E9C: BF8C4070
	v_mfma_f32_16x16x32_fp8_fp8 v[76:79], a[128:129], a[56:57], v[76:79]// 000000007EA0: D3F3004C 1D327180
	buffer_load_dwordx4 a[120:123], v72, s[24:27], 0 offen     // 000000007EA8: E05C1000 80867848
	v_mfma_f32_16x16x32_fp8_fp8 v[76:79], a[130:131], a[58:59], v[76:79]// 000000007EB0: D3F3004C 1D327582
	v_mfma_f32_16x16x32_fp8_fp8 v[76:79], a[132:133], a[60:61], v[76:79]// 000000007EB8: D3F3004C 1D327984
	v_mfma_f32_16x16x32_fp8_fp8 v[76:79], a[134:135], a[62:63], v[76:79]// 000000007EC0: D3F3004C 1D327D86
	v_mfma_f32_16x16x32_fp8_fp8 v[80:83], a[128:129], a[64:65], v[80:83]// 000000007EC8: D3F30050 1D428180
	buffer_load_dwordx4 a[124:127], v72, s[24:27], 0 offen offset:1024// 000000007ED0: E05C1400 80867C48
	buffer_load_dword v58, s[20:23], 0 offen lds               // 000000007ED8: E0511000 8005003A
	s_add_u32 m0, 0x100, s48                                   // 000000007EE0: 807C30FF 00000100
	v_mfma_f32_16x16x32_fp8_fp8 v[80:83], a[130:131], a[66:67], v[80:83]// 000000007EE8: D3F30050 1D428582
	v_mfma_f32_16x16x32_fp8_fp8 v[80:83], a[132:133], a[68:69], v[80:83]// 000000007EF0: D3F30050 1D428984
	buffer_load_dword v59, s[20:23], 0 offen lds               // 000000007EF8: E0511000 8005003B
	s_add_u32 m0, 0x200, s48                                   // 000000007F00: 807C30FF 00000200
	v_mfma_f32_16x16x32_fp8_fp8 v[80:83], a[134:135], a[70:71], v[80:83]// 000000007F08: D3F30050 1D428D86
	v_mfma_f32_16x16x32_fp8_fp8 v[84:87], a[128:129], a[72:73], v[84:87]// 000000007F10: D3F30054 1D529180
	buffer_load_dword v60, s[20:23], 0 offen lds               // 000000007F18: E0511000 8005003C
	s_add_u32 m0, 0x300, s48                                   // 000000007F20: 807C30FF 00000300
	v_mfma_f32_16x16x32_fp8_fp8 v[84:87], a[130:131], a[74:75], v[84:87]// 000000007F28: D3F30054 1D529582
	v_mfma_f32_16x16x32_fp8_fp8 v[84:87], a[132:133], a[76:77], v[84:87]// 000000007F30: D3F30054 1D529984
	buffer_load_dword v61, s[20:23], 0 offen lds               // 000000007F38: E0511000 8005003D
	s_add_u32 m0, 0x400, s48                                   // 000000007F40: 807C30FF 00000400
	v_mfma_f32_16x16x32_fp8_fp8 v[84:87], a[134:135], a[78:79], v[84:87]// 000000007F48: D3F30054 1D529D86
	v_mfma_f32_16x16x32_fp8_fp8 v[88:91], a[128:129], a[80:81], v[88:91]// 000000007F50: D3F30058 1D62A180
	buffer_load_dword v62, s[20:23], 0 offen lds               // 000000007F58: E0511000 8005003E
	s_add_u32 m0, 0x500, s48                                   // 000000007F60: 807C30FF 00000500
	v_mfma_f32_16x16x32_fp8_fp8 v[88:91], a[130:131], a[82:83], v[88:91]// 000000007F68: D3F30058 1D62A582
	v_mfma_f32_16x16x32_fp8_fp8 v[88:91], a[132:133], a[84:85], v[88:91]// 000000007F70: D3F30058 1D62A984
	buffer_load_dword v63, s[20:23], 0 offen lds               // 000000007F78: E0511000 8005003F
	s_add_u32 m0, 0x600, s48                                   // 000000007F80: 807C30FF 00000600
	v_mfma_f32_16x16x32_fp8_fp8 v[88:91], a[134:135], a[86:87], v[88:91]// 000000007F88: D3F30058 1D62AD86
	v_mfma_f32_16x16x32_fp8_fp8 v[92:95], a[128:129], a[88:89], v[92:95]// 000000007F90: D3F3005C 1D72B180
	buffer_load_dword v64, s[20:23], 0 offen lds               // 000000007F98: E0511000 80050040
	s_add_u32 m0, 0x700, s48                                   // 000000007FA0: 807C30FF 00000700
	v_mfma_f32_16x16x32_fp8_fp8 v[92:95], a[130:131], a[90:91], v[92:95]// 000000007FA8: D3F3005C 1D72B582
	v_mfma_f32_16x16x32_fp8_fp8 v[92:95], a[132:133], a[92:93], v[92:95]// 000000007FB0: D3F3005C 1D72B984
	buffer_load_dword v65, s[20:23], 0 offen lds               // 000000007FB8: E0511000 80050041
	s_add_u32 m0, 0x800, s48                                   // 000000007FC0: 807C30FF 00000800
	v_mfma_f32_16x16x32_fp8_fp8 v[92:95], a[134:135], a[94:95], v[92:95]// 000000007FC8: D3F3005C 1D72BD86
	v_mfma_f32_16x16x32_fp8_fp8 v[96:99], a[128:129], a[96:97], v[96:99]// 000000007FD0: D3F30060 1D82C180
	buffer_load_dword v66, s[20:23], 0 offen lds               // 000000007FD8: E0511000 80050042
	s_add_u32 m0, 0x900, s48                                   // 000000007FE0: 807C30FF 00000900
	v_mfma_f32_16x16x32_fp8_fp8 v[96:99], a[130:131], a[98:99], v[96:99]// 000000007FE8: D3F30060 1D82C582
	v_mfma_f32_16x16x32_fp8_fp8 v[96:99], a[132:133], a[100:101], v[96:99]// 000000007FF0: D3F30060 1D82C984
	buffer_load_dword v67, s[20:23], 0 offen lds               // 000000007FF8: E0511000 80050043
	s_add_u32 m0, 0xa00, s48                                   // 000000008000: 807C30FF 00000A00
	v_mfma_f32_16x16x32_fp8_fp8 v[96:99], a[134:135], a[102:103], v[96:99]// 000000008008: D3F30060 1D82CD86
	v_mfma_f32_16x16x32_fp8_fp8 v[100:103], a[128:129], a[104:105], v[100:103]// 000000008010: D3F30064 1D92D180
	buffer_load_dword v68, s[20:23], 0 offen lds               // 000000008018: E0511000 80050044
	s_add_u32 m0, 0xb00, s48                                   // 000000008020: 807C30FF 00000B00
	v_mfma_f32_16x16x32_fp8_fp8 v[100:103], a[130:131], a[106:107], v[100:103]// 000000008028: D3F30064 1D92D582
	v_mfma_f32_16x16x32_fp8_fp8 v[100:103], a[132:133], a[108:109], v[100:103]// 000000008030: D3F30064 1D92D984
	buffer_load_dword v69, s[20:23], 0 offen lds               // 000000008038: E0511000 80050045
	s_add_u32 m0, 0xc00, s48                                   // 000000008040: 807C30FF 00000C00
	v_mfma_f32_16x16x32_fp8_fp8 v[100:103], a[134:135], a[110:111], v[100:103]// 000000008048: D3F30064 1D92DD86
	buffer_load_dword v70, s[20:23], 0 offen lds               // 000000008050: E0511000 80050046
	s_add_u32 m0, 0xd00, s48                                   // 000000008058: 807C30FF 00000D00
	buffer_load_dword v71, s[20:23], 0 offen lds               // 000000008060: E0511000 80050047
	s_add_u32 m0, 0, s49                                       // 000000008068: 807C3180
	s_waitcnt vmcnt(16)                                        // 00000000806C: BF8C4F70
	s_barrier                                                  // 000000008070: BF8A0000
	v_mfma_f32_16x16x32_fp8_fp8 v[104:107], a[112:113], a[56:57], v[104:107]// 000000008074: D3F30068 1DA27170
	buffer_load_dwordx4 a[128:131], v72, s[84:87], 0 offen     // 00000000807C: E05C1000 80958048
	v_mfma_f32_16x16x32_fp8_fp8 v[104:107], a[114:115], a[58:59], v[104:107]// 000000008084: D3F30068 1DA27572
	v_mfma_f32_16x16x32_fp8_fp8 v[104:107], a[116:117], a[60:61], v[104:107]// 00000000808C: D3F30068 1DA27974
	ds_read_b128 a[0:3], v2 offset:28928                       // 000000008094: DBFE7100 00000002
	ds_read_b128 a[4:7], v2 offset:28992                       // 00000000809C: DBFE7140 04000002
	v_mfma_f32_16x16x32_fp8_fp8 v[104:107], a[118:119], a[62:63], v[104:107]// 0000000080A4: D3F30068 1DA27D76
	v_mfma_f32_16x16x32_fp8_fp8 v[108:111], a[112:113], a[64:65], v[108:111]// 0000000080AC: D3F3006C 1DB28170
	buffer_load_dwordx4 a[132:135], v72, s[84:87], 0 offen offset:1024// 0000000080B4: E05C1400 80958448
	v_mfma_f32_16x16x32_fp8_fp8 v[108:111], a[114:115], a[66:67], v[108:111]// 0000000080BC: D3F3006C 1DB28572
	v_mfma_f32_16x16x32_fp8_fp8 v[108:111], a[116:117], a[68:69], v[108:111]// 0000000080C4: D3F3006C 1DB28974
	ds_read_b128 a[8:11], v2 offset:29440                      // 0000000080CC: DBFE7300 08000002
	ds_read_b128 a[12:15], v2 offset:29504                     // 0000000080D4: DBFE7340 0C000002
	v_mfma_f32_16x16x32_fp8_fp8 v[108:111], a[118:119], a[70:71], v[108:111]// 0000000080DC: D3F3006C 1DB28D76
	v_mfma_f32_16x16x32_fp8_fp8 v[112:115], a[112:113], a[72:73], v[112:115]// 0000000080E4: D3F30070 1DC29170
	v_mfma_f32_16x16x32_fp8_fp8 v[112:115], a[114:115], a[74:75], v[112:115]// 0000000080EC: D3F30070 1DC29572
	v_mfma_f32_16x16x32_fp8_fp8 v[112:115], a[116:117], a[76:77], v[112:115]// 0000000080F4: D3F30070 1DC29974
	ds_read_b128 a[16:19], v2 offset:29952                     // 0000000080FC: DBFE7500 10000002
	ds_read_b128 a[20:23], v2 offset:30016                     // 000000008104: DBFE7540 14000002
	v_mfma_f32_16x16x32_fp8_fp8 v[112:115], a[118:119], a[78:79], v[112:115]// 00000000810C: D3F30070 1DC29D76
	v_mfma_f32_16x16x32_fp8_fp8 v[116:119], a[112:113], a[80:81], v[116:119]// 000000008114: D3F30074 1DD2A170
	v_mfma_f32_16x16x32_fp8_fp8 v[116:119], a[114:115], a[82:83], v[116:119]// 00000000811C: D3F30074 1DD2A572
	v_mfma_f32_16x16x32_fp8_fp8 v[116:119], a[116:117], a[84:85], v[116:119]// 000000008124: D3F30074 1DD2A974
	ds_read_b128 a[24:27], v2 offset:30464                     // 00000000812C: DBFE7700 18000002
	ds_read_b128 a[28:31], v2 offset:30528                     // 000000008134: DBFE7740 1C000002
	v_mfma_f32_16x16x32_fp8_fp8 v[116:119], a[118:119], a[86:87], v[116:119]// 00000000813C: D3F30074 1DD2AD76
	v_mfma_f32_16x16x32_fp8_fp8 v[120:123], a[112:113], a[88:89], v[120:123]// 000000008144: D3F30078 1DE2B170
	v_mfma_f32_16x16x32_fp8_fp8 v[120:123], a[114:115], a[90:91], v[120:123]// 00000000814C: D3F30078 1DE2B572
	v_mfma_f32_16x16x32_fp8_fp8 v[120:123], a[116:117], a[92:93], v[120:123]// 000000008154: D3F30078 1DE2B974
	ds_read_b128 a[32:35], v2 offset:30976                     // 00000000815C: DBFE7900 20000002
	ds_read_b128 a[36:39], v2 offset:31040                     // 000000008164: DBFE7940 24000002
	v_mfma_f32_16x16x32_fp8_fp8 v[120:123], a[118:119], a[94:95], v[120:123]// 00000000816C: D3F30078 1DE2BD76
	v_mfma_f32_16x16x32_fp8_fp8 v[124:127], a[112:113], a[96:97], v[124:127]// 000000008174: D3F3007C 1DF2C170
	s_add_u32 s60, 0x180, s80                                  // 00000000817C: 803C50FF 00000180
	s_cmp_lt_u32 s60, s81                                      // 000000008184: BF0A513C
	s_cselect_b32 s57, s57, 0                                  // 000000008188: 85398039
	v_mfma_f32_16x16x32_fp8_fp8 v[124:127], a[114:115], a[98:99], v[124:127]// 00000000818C: D3F3007C 1DF2C572
	s_add_u32 s60, 0x100, s80                                  // 000000008194: 803C50FF 00000100
	s_cmp_lt_u32 s60, s81                                      // 00000000819C: BF0A513C
	s_cselect_b32 s58, s58, 0                                  // 0000000081A0: 853A803A
	v_mfma_f32_16x16x32_fp8_fp8 v[124:127], a[116:117], a[100:101], v[124:127]// 0000000081A4: D3F3007C 1DF2C974
	ds_read_b128 a[40:43], v2 offset:31488                     // 0000000081AC: DBFE7B00 28000002
	ds_read_b128 a[44:47], v2 offset:31552                     // 0000000081B4: DBFE7B40 2C000002
	s_add_u32 s60, 0x100, s80                                  // 0000000081BC: 803C50FF 00000100
	s_cmp_lt_u32 s60, s81                                      // 0000000081C4: BF0A513C
	s_cselect_b32 s83, s83, 0                                  // 0000000081C8: 85538053
	v_mfma_f32_16x16x32_fp8_fp8 v[124:127], a[118:119], a[102:103], v[124:127]// 0000000081CC: D3F3007C 1DF2CD76
	s_add_u32 s24, s58, s24                                    // 0000000081D4: 8018183A
	s_addc_u32 s25, 0, s25                                     // 0000000081D8: 82191980
	v_mfma_f32_16x16x32_fp8_fp8 v[128:131], a[112:113], a[104:105], v[128:131]// 0000000081DC: D3F30080 1E02D170
	s_add_u32 s20, s57, s20                                    // 0000000081E4: 80141439
	s_addc_u32 s21, 0, s21                                     // 0000000081E8: 82151580
	v_mfma_f32_16x16x32_fp8_fp8 v[128:131], a[114:115], a[106:107], v[128:131]// 0000000081EC: D3F30080 1E02D572
	s_add_u32 s84, s83, s84                                    // 0000000081F4: 80545453
	s_addc_u32 s85, 0, s85                                     // 0000000081F8: 82555580
	v_mfma_f32_16x16x32_fp8_fp8 v[128:131], a[116:117], a[108:109], v[128:131]// 0000000081FC: D3F30080 1E02D974
	ds_read_b128 a[48:51], v2 offset:32000                     // 000000008204: DBFE7D00 30000002
	ds_read_b128 a[52:55], v2 offset:32064                     // 00000000820C: DBFE7D40 34000002
	v_mfma_f32_16x16x32_fp8_fp8 v[128:131], a[118:119], a[110:111], v[128:131]// 000000008214: D3F30080 1E02DD76
	s_addk_i32 s80, 0x80                                       // 00000000821C: B7500080
	s_cmp_lt_i32 s80, s81                                      // 000000008220: BF045150
	s_cbranch_scc0 label_199A                                  // 000000008224: BF84038D
	s_waitcnt vmcnt(16) lgkmcnt(0)                             // 000000008228: BF8C4070
	v_mfma_f32_16x16x32_fp8_fp8 v[76:79], a[120:121], a[0:1], v[76:79]// 00000000822C: D3F3004C 1D320178
	buffer_load_dwordx4 a[112:115], v72, s[24:27], 0 offen     // 000000008234: E05C1000 80867048
	v_mfma_f32_16x16x32_fp8_fp8 v[76:79], a[122:123], a[2:3], v[76:79]// 00000000823C: D3F3004C 1D32057A
	v_mfma_f32_16x16x32_fp8_fp8 v[76:79], a[124:125], a[4:5], v[76:79]// 000000008244: D3F3004C 1D32097C
	v_mfma_f32_16x16x32_fp8_fp8 v[76:79], a[126:127], a[6:7], v[76:79]// 00000000824C: D3F3004C 1D320D7E
	v_mfma_f32_16x16x32_fp8_fp8 v[80:83], a[120:121], a[8:9], v[80:83]// 000000008254: D3F30050 1D421178
	buffer_load_dwordx4 a[116:119], v72, s[24:27], 0 offen offset:1024// 00000000825C: E05C1400 80867448
	buffer_load_dword v58, s[20:23], 0 offen lds               // 000000008264: E0511000 8005003A
	s_add_u32 m0, 0x100, s49                                   // 00000000826C: 807C31FF 00000100
	v_mfma_f32_16x16x32_fp8_fp8 v[80:83], a[122:123], a[10:11], v[80:83]// 000000008274: D3F30050 1D42157A
	v_mfma_f32_16x16x32_fp8_fp8 v[80:83], a[124:125], a[12:13], v[80:83]// 00000000827C: D3F30050 1D42197C
	buffer_load_dword v59, s[20:23], 0 offen lds               // 000000008284: E0511000 8005003B
	s_add_u32 m0, 0x200, s49                                   // 00000000828C: 807C31FF 00000200
	v_mfma_f32_16x16x32_fp8_fp8 v[80:83], a[126:127], a[14:15], v[80:83]// 000000008294: D3F30050 1D421D7E
	v_mfma_f32_16x16x32_fp8_fp8 v[84:87], a[120:121], a[16:17], v[84:87]// 00000000829C: D3F30054 1D522178
	buffer_load_dword v60, s[20:23], 0 offen lds               // 0000000082A4: E0511000 8005003C
	s_add_u32 m0, 0x300, s49                                   // 0000000082AC: 807C31FF 00000300
	v_mfma_f32_16x16x32_fp8_fp8 v[84:87], a[122:123], a[18:19], v[84:87]// 0000000082B4: D3F30054 1D52257A
	v_mfma_f32_16x16x32_fp8_fp8 v[84:87], a[124:125], a[20:21], v[84:87]// 0000000082BC: D3F30054 1D52297C
	buffer_load_dword v61, s[20:23], 0 offen lds               // 0000000082C4: E0511000 8005003D
	s_add_u32 m0, 0x400, s49                                   // 0000000082CC: 807C31FF 00000400
	v_mfma_f32_16x16x32_fp8_fp8 v[84:87], a[126:127], a[22:23], v[84:87]// 0000000082D4: D3F30054 1D522D7E
	v_mfma_f32_16x16x32_fp8_fp8 v[88:91], a[120:121], a[24:25], v[88:91]// 0000000082DC: D3F30058 1D623178
	buffer_load_dword v62, s[20:23], 0 offen lds               // 0000000082E4: E0511000 8005003E
	s_add_u32 m0, 0x500, s49                                   // 0000000082EC: 807C31FF 00000500
	v_mfma_f32_16x16x32_fp8_fp8 v[88:91], a[122:123], a[26:27], v[88:91]// 0000000082F4: D3F30058 1D62357A
	v_mfma_f32_16x16x32_fp8_fp8 v[88:91], a[124:125], a[28:29], v[88:91]// 0000000082FC: D3F30058 1D62397C
	buffer_load_dword v63, s[20:23], 0 offen lds               // 000000008304: E0511000 8005003F
	s_add_u32 m0, 0x600, s49                                   // 00000000830C: 807C31FF 00000600
	v_mfma_f32_16x16x32_fp8_fp8 v[88:91], a[126:127], a[30:31], v[88:91]// 000000008314: D3F30058 1D623D7E
	v_mfma_f32_16x16x32_fp8_fp8 v[92:95], a[120:121], a[32:33], v[92:95]// 00000000831C: D3F3005C 1D724178
	buffer_load_dword v64, s[20:23], 0 offen lds               // 000000008324: E0511000 80050040
	s_add_u32 m0, 0x700, s49                                   // 00000000832C: 807C31FF 00000700
	v_mfma_f32_16x16x32_fp8_fp8 v[92:95], a[122:123], a[34:35], v[92:95]// 000000008334: D3F3005C 1D72457A
	v_mfma_f32_16x16x32_fp8_fp8 v[92:95], a[124:125], a[36:37], v[92:95]// 00000000833C: D3F3005C 1D72497C
	buffer_load_dword v65, s[20:23], 0 offen lds               // 000000008344: E0511000 80050041
	s_add_u32 m0, 0x800, s49                                   // 00000000834C: 807C31FF 00000800
	v_mfma_f32_16x16x32_fp8_fp8 v[92:95], a[126:127], a[38:39], v[92:95]// 000000008354: D3F3005C 1D724D7E
	v_mfma_f32_16x16x32_fp8_fp8 v[96:99], a[120:121], a[40:41], v[96:99]// 00000000835C: D3F30060 1D825178
	buffer_load_dword v66, s[20:23], 0 offen lds               // 000000008364: E0511000 80050042
	s_add_u32 m0, 0x900, s49                                   // 00000000836C: 807C31FF 00000900
	v_mfma_f32_16x16x32_fp8_fp8 v[96:99], a[122:123], a[42:43], v[96:99]// 000000008374: D3F30060 1D82557A
	v_mfma_f32_16x16x32_fp8_fp8 v[96:99], a[124:125], a[44:45], v[96:99]// 00000000837C: D3F30060 1D82597C
	buffer_load_dword v67, s[20:23], 0 offen lds               // 000000008384: E0511000 80050043
	s_add_u32 m0, 0xa00, s49                                   // 00000000838C: 807C31FF 00000A00
	v_mfma_f32_16x16x32_fp8_fp8 v[96:99], a[126:127], a[46:47], v[96:99]// 000000008394: D3F30060 1D825D7E
	v_mfma_f32_16x16x32_fp8_fp8 v[100:103], a[120:121], a[48:49], v[100:103]// 00000000839C: D3F30064 1D926178
	buffer_load_dword v68, s[20:23], 0 offen lds               // 0000000083A4: E0511000 80050044
	s_add_u32 m0, 0xb00, s49                                   // 0000000083AC: 807C31FF 00000B00
	v_mfma_f32_16x16x32_fp8_fp8 v[100:103], a[122:123], a[50:51], v[100:103]// 0000000083B4: D3F30064 1D92657A
	v_mfma_f32_16x16x32_fp8_fp8 v[100:103], a[124:125], a[52:53], v[100:103]// 0000000083BC: D3F30064 1D92697C
	buffer_load_dword v69, s[20:23], 0 offen lds               // 0000000083C4: E0511000 80050045
	s_add_u32 m0, 0xc00, s49                                   // 0000000083CC: 807C31FF 00000C00
	v_mfma_f32_16x16x32_fp8_fp8 v[100:103], a[126:127], a[54:55], v[100:103]// 0000000083D4: D3F30064 1D926D7E
	buffer_load_dword v70, s[20:23], 0 offen lds               // 0000000083DC: E0511000 80050046
	s_add_u32 m0, 0xd00, s49                                   // 0000000083E4: 807C31FF 00000D00
	buffer_load_dword v71, s[20:23], 0 offen lds               // 0000000083EC: E0511000 80050047
	s_add_u32 m0, 0, s50                                       // 0000000083F4: 807C3280
	s_waitcnt vmcnt(16)                                        // 0000000083F8: BF8C4F70
	s_barrier                                                  // 0000000083FC: BF8A0000
	v_mfma_f32_16x16x32_fp8_fp8 v[104:107], a[128:129], a[0:1], v[104:107]// 000000008400: D3F30068 1DA20180
	buffer_load_dwordx4 a[120:123], v72, s[84:87], 0 offen     // 000000008408: E05C1000 80957848
	v_mfma_f32_16x16x32_fp8_fp8 v[104:107], a[130:131], a[2:3], v[104:107]// 000000008410: D3F30068 1DA20582
	v_mfma_f32_16x16x32_fp8_fp8 v[104:107], a[132:133], a[4:5], v[104:107]// 000000008418: D3F30068 1DA20984
	ds_read_b128 a[56:59], v2                                  // 000000008420: DBFE0000 38000002
	ds_read_b128 a[60:63], v2 offset:64                        // 000000008428: DBFE0040 3C000002
	v_mfma_f32_16x16x32_fp8_fp8 v[104:107], a[134:135], a[6:7], v[104:107]// 000000008430: D3F30068 1DA20D86
	v_mfma_f32_16x16x32_fp8_fp8 v[108:111], a[128:129], a[8:9], v[108:111]// 000000008438: D3F3006C 1DB21180
	buffer_load_dwordx4 a[124:127], v72, s[84:87], 0 offen offset:1024// 000000008440: E05C1400 80957C48
	v_mfma_f32_16x16x32_fp8_fp8 v[108:111], a[130:131], a[10:11], v[108:111]// 000000008448: D3F3006C 1DB21582
	v_mfma_f32_16x16x32_fp8_fp8 v[108:111], a[132:133], a[12:13], v[108:111]// 000000008450: D3F3006C 1DB21984
	ds_read_b128 a[64:67], v2 offset:512                       // 000000008458: DBFE0200 40000002
	ds_read_b128 a[68:71], v2 offset:576                       // 000000008460: DBFE0240 44000002
	v_mfma_f32_16x16x32_fp8_fp8 v[108:111], a[134:135], a[14:15], v[108:111]// 000000008468: D3F3006C 1DB21D86
	v_mfma_f32_16x16x32_fp8_fp8 v[112:115], a[128:129], a[16:17], v[112:115]// 000000008470: D3F30070 1DC22180
	v_mfma_f32_16x16x32_fp8_fp8 v[112:115], a[130:131], a[18:19], v[112:115]// 000000008478: D3F30070 1DC22582
	v_mfma_f32_16x16x32_fp8_fp8 v[112:115], a[132:133], a[20:21], v[112:115]// 000000008480: D3F30070 1DC22984
	ds_read_b128 a[72:75], v2 offset:1024                      // 000000008488: DBFE0400 48000002
	ds_read_b128 a[76:79], v2 offset:1088                      // 000000008490: DBFE0440 4C000002
	v_mfma_f32_16x16x32_fp8_fp8 v[112:115], a[134:135], a[22:23], v[112:115]// 000000008498: D3F30070 1DC22D86
	v_mfma_f32_16x16x32_fp8_fp8 v[116:119], a[128:129], a[24:25], v[116:119]// 0000000084A0: D3F30074 1DD23180
	v_mfma_f32_16x16x32_fp8_fp8 v[116:119], a[130:131], a[26:27], v[116:119]// 0000000084A8: D3F30074 1DD23582
	v_mfma_f32_16x16x32_fp8_fp8 v[116:119], a[132:133], a[28:29], v[116:119]// 0000000084B0: D3F30074 1DD23984
	ds_read_b128 a[80:83], v2 offset:1536                      // 0000000084B8: DBFE0600 50000002
	ds_read_b128 a[84:87], v2 offset:1600                      // 0000000084C0: DBFE0640 54000002
	v_mfma_f32_16x16x32_fp8_fp8 v[116:119], a[134:135], a[30:31], v[116:119]// 0000000084C8: D3F30074 1DD23D86
	v_mfma_f32_16x16x32_fp8_fp8 v[120:123], a[128:129], a[32:33], v[120:123]// 0000000084D0: D3F30078 1DE24180
	v_mfma_f32_16x16x32_fp8_fp8 v[120:123], a[130:131], a[34:35], v[120:123]// 0000000084D8: D3F30078 1DE24582
	v_mfma_f32_16x16x32_fp8_fp8 v[120:123], a[132:133], a[36:37], v[120:123]// 0000000084E0: D3F30078 1DE24984
	ds_read_b128 a[88:91], v2 offset:2048                      // 0000000084E8: DBFE0800 58000002
	ds_read_b128 a[92:95], v2 offset:2112                      // 0000000084F0: DBFE0840 5C000002
	v_mfma_f32_16x16x32_fp8_fp8 v[120:123], a[134:135], a[38:39], v[120:123]// 0000000084F8: D3F30078 1DE24D86
	v_mfma_f32_16x16x32_fp8_fp8 v[124:127], a[128:129], a[40:41], v[124:127]// 000000008500: D3F3007C 1DF25180
	s_add_u32 s60, 0x180, s80                                  // 000000008508: 803C50FF 00000180
	s_cmp_lt_u32 s60, s81                                      // 000000008510: BF0A513C
	s_cselect_b32 s57, s57, 0                                  // 000000008514: 85398039
	v_mfma_f32_16x16x32_fp8_fp8 v[124:127], a[130:131], a[42:43], v[124:127]// 000000008518: D3F3007C 1DF25582
	s_add_u32 s60, 0x100, s80                                  // 000000008520: 803C50FF 00000100
	s_cmp_lt_u32 s60, s81                                      // 000000008528: BF0A513C
	s_cselect_b32 s58, s58, 0                                  // 00000000852C: 853A803A
	v_mfma_f32_16x16x32_fp8_fp8 v[124:127], a[132:133], a[44:45], v[124:127]// 000000008530: D3F3007C 1DF25984
	ds_read_b128 a[96:99], v2 offset:2560                      // 000000008538: DBFE0A00 60000002
	ds_read_b128 a[100:103], v2 offset:2624                    // 000000008540: DBFE0A40 64000002
	s_add_u32 s60, 0x100, s80                                  // 000000008548: 803C50FF 00000100
	s_cmp_lt_u32 s60, s81                                      // 000000008550: BF0A513C
	s_cselect_b32 s83, s83, 0                                  // 000000008554: 85538053
	v_mfma_f32_16x16x32_fp8_fp8 v[124:127], a[134:135], a[46:47], v[124:127]// 000000008558: D3F3007C 1DF25D86
	s_add_u32 s24, s58, s24                                    // 000000008560: 8018183A
	s_addc_u32 s25, 0, s25                                     // 000000008564: 82191980
	v_mfma_f32_16x16x32_fp8_fp8 v[128:131], a[128:129], a[48:49], v[128:131]// 000000008568: D3F30080 1E026180
	s_add_u32 s20, s57, s20                                    // 000000008570: 80141439
	s_addc_u32 s21, 0, s21                                     // 000000008574: 82151580
	v_mfma_f32_16x16x32_fp8_fp8 v[128:131], a[130:131], a[50:51], v[128:131]// 000000008578: D3F30080 1E026582
	s_add_u32 s84, s83, s84                                    // 000000008580: 80545453
	s_addc_u32 s85, 0, s85                                     // 000000008584: 82555580
	v_mfma_f32_16x16x32_fp8_fp8 v[128:131], a[132:133], a[52:53], v[128:131]// 000000008588: D3F30080 1E026984
	ds_read_b128 a[104:107], v2 offset:3072                    // 000000008590: DBFE0C00 68000002
	ds_read_b128 a[108:111], v2 offset:3136                    // 000000008598: DBFE0C40 6C000002
	v_mfma_f32_16x16x32_fp8_fp8 v[128:131], a[134:135], a[54:55], v[128:131]// 0000000085A0: D3F30080 1E026D86
	s_addk_i32 s80, 0x80                                       // 0000000085A8: B7500080
	s_cmp_lt_i32 s80, s81                                      // 0000000085AC: BF045150
	s_cbranch_scc0 label_199A                                  // 0000000085B0: BF8402AA
	s_waitcnt vmcnt(16) lgkmcnt(0)                             // 0000000085B4: BF8C4070
	v_mfma_f32_16x16x32_fp8_fp8 v[76:79], a[112:113], a[56:57], v[76:79]// 0000000085B8: D3F3004C 1D327170
	buffer_load_dwordx4 a[128:131], v72, s[24:27], 0 offen     // 0000000085C0: E05C1000 80868048
	v_mfma_f32_16x16x32_fp8_fp8 v[76:79], a[114:115], a[58:59], v[76:79]// 0000000085C8: D3F3004C 1D327572
	v_mfma_f32_16x16x32_fp8_fp8 v[76:79], a[116:117], a[60:61], v[76:79]// 0000000085D0: D3F3004C 1D327974
	v_mfma_f32_16x16x32_fp8_fp8 v[76:79], a[118:119], a[62:63], v[76:79]// 0000000085D8: D3F3004C 1D327D76
	v_mfma_f32_16x16x32_fp8_fp8 v[80:83], a[112:113], a[64:65], v[80:83]// 0000000085E0: D3F30050 1D428170
	buffer_load_dwordx4 a[132:135], v72, s[24:27], 0 offen offset:1024// 0000000085E8: E05C1400 80868448
	buffer_load_dword v58, s[20:23], 0 offen lds               // 0000000085F0: E0511000 8005003A
	s_add_u32 m0, 0x100, s50                                   // 0000000085F8: 807C32FF 00000100
	v_mfma_f32_16x16x32_fp8_fp8 v[80:83], a[114:115], a[66:67], v[80:83]// 000000008600: D3F30050 1D428572
	v_mfma_f32_16x16x32_fp8_fp8 v[80:83], a[116:117], a[68:69], v[80:83]// 000000008608: D3F30050 1D428974
	buffer_load_dword v59, s[20:23], 0 offen lds               // 000000008610: E0511000 8005003B
	s_add_u32 m0, 0x200, s50                                   // 000000008618: 807C32FF 00000200
	v_mfma_f32_16x16x32_fp8_fp8 v[80:83], a[118:119], a[70:71], v[80:83]// 000000008620: D3F30050 1D428D76
	v_mfma_f32_16x16x32_fp8_fp8 v[84:87], a[112:113], a[72:73], v[84:87]// 000000008628: D3F30054 1D529170
	buffer_load_dword v60, s[20:23], 0 offen lds               // 000000008630: E0511000 8005003C
	s_add_u32 m0, 0x300, s50                                   // 000000008638: 807C32FF 00000300
	v_mfma_f32_16x16x32_fp8_fp8 v[84:87], a[114:115], a[74:75], v[84:87]// 000000008640: D3F30054 1D529572
	v_mfma_f32_16x16x32_fp8_fp8 v[84:87], a[116:117], a[76:77], v[84:87]// 000000008648: D3F30054 1D529974
	buffer_load_dword v61, s[20:23], 0 offen lds               // 000000008650: E0511000 8005003D
	s_add_u32 m0, 0x400, s50                                   // 000000008658: 807C32FF 00000400
	v_mfma_f32_16x16x32_fp8_fp8 v[84:87], a[118:119], a[78:79], v[84:87]// 000000008660: D3F30054 1D529D76
	v_mfma_f32_16x16x32_fp8_fp8 v[88:91], a[112:113], a[80:81], v[88:91]// 000000008668: D3F30058 1D62A170
	buffer_load_dword v62, s[20:23], 0 offen lds               // 000000008670: E0511000 8005003E
	s_add_u32 m0, 0x500, s50                                   // 000000008678: 807C32FF 00000500
	v_mfma_f32_16x16x32_fp8_fp8 v[88:91], a[114:115], a[82:83], v[88:91]// 000000008680: D3F30058 1D62A572
	v_mfma_f32_16x16x32_fp8_fp8 v[88:91], a[116:117], a[84:85], v[88:91]// 000000008688: D3F30058 1D62A974
	buffer_load_dword v63, s[20:23], 0 offen lds               // 000000008690: E0511000 8005003F
	s_add_u32 m0, 0x600, s50                                   // 000000008698: 807C32FF 00000600
	v_mfma_f32_16x16x32_fp8_fp8 v[88:91], a[118:119], a[86:87], v[88:91]// 0000000086A0: D3F30058 1D62AD76
	v_mfma_f32_16x16x32_fp8_fp8 v[92:95], a[112:113], a[88:89], v[92:95]// 0000000086A8: D3F3005C 1D72B170
	buffer_load_dword v64, s[20:23], 0 offen lds               // 0000000086B0: E0511000 80050040
	s_add_u32 m0, 0x700, s50                                   // 0000000086B8: 807C32FF 00000700
	v_mfma_f32_16x16x32_fp8_fp8 v[92:95], a[114:115], a[90:91], v[92:95]// 0000000086C0: D3F3005C 1D72B572
	v_mfma_f32_16x16x32_fp8_fp8 v[92:95], a[116:117], a[92:93], v[92:95]// 0000000086C8: D3F3005C 1D72B974
	buffer_load_dword v65, s[20:23], 0 offen lds               // 0000000086D0: E0511000 80050041
	s_add_u32 m0, 0x800, s50                                   // 0000000086D8: 807C32FF 00000800
	v_mfma_f32_16x16x32_fp8_fp8 v[92:95], a[118:119], a[94:95], v[92:95]// 0000000086E0: D3F3005C 1D72BD76
	v_mfma_f32_16x16x32_fp8_fp8 v[96:99], a[112:113], a[96:97], v[96:99]// 0000000086E8: D3F30060 1D82C170
	buffer_load_dword v66, s[20:23], 0 offen lds               // 0000000086F0: E0511000 80050042
	s_add_u32 m0, 0x900, s50                                   // 0000000086F8: 807C32FF 00000900
	v_mfma_f32_16x16x32_fp8_fp8 v[96:99], a[114:115], a[98:99], v[96:99]// 000000008700: D3F30060 1D82C572
	v_mfma_f32_16x16x32_fp8_fp8 v[96:99], a[116:117], a[100:101], v[96:99]// 000000008708: D3F30060 1D82C974
	buffer_load_dword v67, s[20:23], 0 offen lds               // 000000008710: E0511000 80050043
	s_add_u32 m0, 0xa00, s50                                   // 000000008718: 807C32FF 00000A00
	v_mfma_f32_16x16x32_fp8_fp8 v[96:99], a[118:119], a[102:103], v[96:99]// 000000008720: D3F30060 1D82CD76
	v_mfma_f32_16x16x32_fp8_fp8 v[100:103], a[112:113], a[104:105], v[100:103]// 000000008728: D3F30064 1D92D170
	buffer_load_dword v68, s[20:23], 0 offen lds               // 000000008730: E0511000 80050044
	s_add_u32 m0, 0xb00, s50                                   // 000000008738: 807C32FF 00000B00
	v_mfma_f32_16x16x32_fp8_fp8 v[100:103], a[114:115], a[106:107], v[100:103]// 000000008740: D3F30064 1D92D572
	v_mfma_f32_16x16x32_fp8_fp8 v[100:103], a[116:117], a[108:109], v[100:103]// 000000008748: D3F30064 1D92D974
	buffer_load_dword v69, s[20:23], 0 offen lds               // 000000008750: E0511000 80050045
	s_add_u32 m0, 0xc00, s50                                   // 000000008758: 807C32FF 00000C00
	v_mfma_f32_16x16x32_fp8_fp8 v[100:103], a[118:119], a[110:111], v[100:103]// 000000008760: D3F30064 1D92DD76
	buffer_load_dword v70, s[20:23], 0 offen lds               // 000000008768: E0511000 80050046
	s_add_u32 m0, 0xd00, s50                                   // 000000008770: 807C32FF 00000D00
	buffer_load_dword v71, s[20:23], 0 offen lds               // 000000008778: E0511000 80050047
	s_add_u32 m0, 0, s48                                       // 000000008780: 807C3080
	s_waitcnt vmcnt(16)                                        // 000000008784: BF8C4F70
	s_barrier                                                  // 000000008788: BF8A0000
	v_mfma_f32_16x16x32_fp8_fp8 v[104:107], a[120:121], a[56:57], v[104:107]// 00000000878C: D3F30068 1DA27178
	buffer_load_dwordx4 a[112:115], v72, s[84:87], 0 offen     // 000000008794: E05C1000 80957048
	v_mfma_f32_16x16x32_fp8_fp8 v[104:107], a[122:123], a[58:59], v[104:107]// 00000000879C: D3F30068 1DA2757A
	v_mfma_f32_16x16x32_fp8_fp8 v[104:107], a[124:125], a[60:61], v[104:107]// 0000000087A4: D3F30068 1DA2797C
	ds_read_b128 a[0:3], v2 offset:14464                       // 0000000087AC: DBFE3880 00000002
	ds_read_b128 a[4:7], v2 offset:14528                       // 0000000087B4: DBFE38C0 04000002
	v_mfma_f32_16x16x32_fp8_fp8 v[104:107], a[126:127], a[62:63], v[104:107]// 0000000087BC: D3F30068 1DA27D7E
	v_mfma_f32_16x16x32_fp8_fp8 v[108:111], a[120:121], a[64:65], v[108:111]// 0000000087C4: D3F3006C 1DB28178
	buffer_load_dwordx4 a[116:119], v72, s[84:87], 0 offen offset:1024// 0000000087CC: E05C1400 80957448
	v_mfma_f32_16x16x32_fp8_fp8 v[108:111], a[122:123], a[66:67], v[108:111]// 0000000087D4: D3F3006C 1DB2857A
	v_mfma_f32_16x16x32_fp8_fp8 v[108:111], a[124:125], a[68:69], v[108:111]// 0000000087DC: D3F3006C 1DB2897C
	ds_read_b128 a[8:11], v2 offset:14976                      // 0000000087E4: DBFE3A80 08000002
	ds_read_b128 a[12:15], v2 offset:15040                     // 0000000087EC: DBFE3AC0 0C000002
	v_mfma_f32_16x16x32_fp8_fp8 v[108:111], a[126:127], a[70:71], v[108:111]// 0000000087F4: D3F3006C 1DB28D7E
	v_mfma_f32_16x16x32_fp8_fp8 v[112:115], a[120:121], a[72:73], v[112:115]// 0000000087FC: D3F30070 1DC29178
	v_mfma_f32_16x16x32_fp8_fp8 v[112:115], a[122:123], a[74:75], v[112:115]// 000000008804: D3F30070 1DC2957A
	v_mfma_f32_16x16x32_fp8_fp8 v[112:115], a[124:125], a[76:77], v[112:115]// 00000000880C: D3F30070 1DC2997C
	ds_read_b128 a[16:19], v2 offset:15488                     // 000000008814: DBFE3C80 10000002
	ds_read_b128 a[20:23], v2 offset:15552                     // 00000000881C: DBFE3CC0 14000002
	v_mfma_f32_16x16x32_fp8_fp8 v[112:115], a[126:127], a[78:79], v[112:115]// 000000008824: D3F30070 1DC29D7E
	v_mfma_f32_16x16x32_fp8_fp8 v[116:119], a[120:121], a[80:81], v[116:119]// 00000000882C: D3F30074 1DD2A178
	v_mfma_f32_16x16x32_fp8_fp8 v[116:119], a[122:123], a[82:83], v[116:119]// 000000008834: D3F30074 1DD2A57A
	v_mfma_f32_16x16x32_fp8_fp8 v[116:119], a[124:125], a[84:85], v[116:119]// 00000000883C: D3F30074 1DD2A97C
	ds_read_b128 a[24:27], v2 offset:16000                     // 000000008844: DBFE3E80 18000002
	ds_read_b128 a[28:31], v2 offset:16064                     // 00000000884C: DBFE3EC0 1C000002
	v_mfma_f32_16x16x32_fp8_fp8 v[116:119], a[126:127], a[86:87], v[116:119]// 000000008854: D3F30074 1DD2AD7E
	v_mfma_f32_16x16x32_fp8_fp8 v[120:123], a[120:121], a[88:89], v[120:123]// 00000000885C: D3F30078 1DE2B178
	v_mfma_f32_16x16x32_fp8_fp8 v[120:123], a[122:123], a[90:91], v[120:123]// 000000008864: D3F30078 1DE2B57A
	v_mfma_f32_16x16x32_fp8_fp8 v[120:123], a[124:125], a[92:93], v[120:123]// 00000000886C: D3F30078 1DE2B97C
	ds_read_b128 a[32:35], v2 offset:16512                     // 000000008874: DBFE4080 20000002
	ds_read_b128 a[36:39], v2 offset:16576                     // 00000000887C: DBFE40C0 24000002
	v_mfma_f32_16x16x32_fp8_fp8 v[120:123], a[126:127], a[94:95], v[120:123]// 000000008884: D3F30078 1DE2BD7E
	v_mfma_f32_16x16x32_fp8_fp8 v[124:127], a[120:121], a[96:97], v[124:127]// 00000000888C: D3F3007C 1DF2C178
	s_add_u32 s60, 0x180, s80                                  // 000000008894: 803C50FF 00000180
	s_cmp_lt_u32 s60, s81                                      // 00000000889C: BF0A513C
	s_cselect_b32 s57, s57, 0                                  // 0000000088A0: 85398039
	v_mfma_f32_16x16x32_fp8_fp8 v[124:127], a[122:123], a[98:99], v[124:127]// 0000000088A4: D3F3007C 1DF2C57A
	s_add_u32 s60, 0x100, s80                                  // 0000000088AC: 803C50FF 00000100
	s_cmp_lt_u32 s60, s81                                      // 0000000088B4: BF0A513C
	s_cselect_b32 s58, s58, 0                                  // 0000000088B8: 853A803A
	v_mfma_f32_16x16x32_fp8_fp8 v[124:127], a[124:125], a[100:101], v[124:127]// 0000000088BC: D3F3007C 1DF2C97C
	ds_read_b128 a[40:43], v2 offset:17024                     // 0000000088C4: DBFE4280 28000002
	ds_read_b128 a[44:47], v2 offset:17088                     // 0000000088CC: DBFE42C0 2C000002
	s_add_u32 s60, 0x100, s80                                  // 0000000088D4: 803C50FF 00000100
	s_cmp_lt_u32 s60, s81                                      // 0000000088DC: BF0A513C
	s_cselect_b32 s83, s83, 0                                  // 0000000088E0: 85538053
	v_mfma_f32_16x16x32_fp8_fp8 v[124:127], a[126:127], a[102:103], v[124:127]// 0000000088E4: D3F3007C 1DF2CD7E
	s_add_u32 s24, s58, s24                                    // 0000000088EC: 8018183A
	s_addc_u32 s25, 0, s25                                     // 0000000088F0: 82191980
	v_mfma_f32_16x16x32_fp8_fp8 v[128:131], a[120:121], a[104:105], v[128:131]// 0000000088F4: D3F30080 1E02D178
	s_add_u32 s20, s57, s20                                    // 0000000088FC: 80141439
	s_addc_u32 s21, 0, s21                                     // 000000008900: 82151580
	v_mfma_f32_16x16x32_fp8_fp8 v[128:131], a[122:123], a[106:107], v[128:131]// 000000008904: D3F30080 1E02D57A
	s_add_u32 s84, s83, s84                                    // 00000000890C: 80545453
	s_addc_u32 s85, 0, s85                                     // 000000008910: 82555580
	v_mfma_f32_16x16x32_fp8_fp8 v[128:131], a[124:125], a[108:109], v[128:131]// 000000008914: D3F30080 1E02D97C
	ds_read_b128 a[48:51], v2 offset:17536                     // 00000000891C: DBFE4480 30000002
	ds_read_b128 a[52:55], v2 offset:17600                     // 000000008924: DBFE44C0 34000002
	v_mfma_f32_16x16x32_fp8_fp8 v[128:131], a[126:127], a[110:111], v[128:131]// 00000000892C: D3F30080 1E02DD7E
	s_addk_i32 s80, 0x80                                       // 000000008934: B7500080
	s_cmp_lt_i32 s80, s81                                      // 000000008938: BF045150
	s_cbranch_scc0 label_199A                                  // 00000000893C: BF8401C7
	s_waitcnt vmcnt(16) lgkmcnt(0)                             // 000000008940: BF8C4070
	v_mfma_f32_16x16x32_fp8_fp8 v[76:79], a[128:129], a[0:1], v[76:79]// 000000008944: D3F3004C 1D320180
	buffer_load_dwordx4 a[120:123], v72, s[24:27], 0 offen     // 00000000894C: E05C1000 80867848
	v_mfma_f32_16x16x32_fp8_fp8 v[76:79], a[130:131], a[2:3], v[76:79]// 000000008954: D3F3004C 1D320582
	v_mfma_f32_16x16x32_fp8_fp8 v[76:79], a[132:133], a[4:5], v[76:79]// 00000000895C: D3F3004C 1D320984
	v_mfma_f32_16x16x32_fp8_fp8 v[76:79], a[134:135], a[6:7], v[76:79]// 000000008964: D3F3004C 1D320D86
	v_mfma_f32_16x16x32_fp8_fp8 v[80:83], a[128:129], a[8:9], v[80:83]// 00000000896C: D3F30050 1D421180
	buffer_load_dwordx4 a[124:127], v72, s[24:27], 0 offen offset:1024// 000000008974: E05C1400 80867C48
	buffer_load_dword v58, s[20:23], 0 offen lds               // 00000000897C: E0511000 8005003A
	s_add_u32 m0, 0x100, s48                                   // 000000008984: 807C30FF 00000100
	v_mfma_f32_16x16x32_fp8_fp8 v[80:83], a[130:131], a[10:11], v[80:83]// 00000000898C: D3F30050 1D421582
	v_mfma_f32_16x16x32_fp8_fp8 v[80:83], a[132:133], a[12:13], v[80:83]// 000000008994: D3F30050 1D421984
	buffer_load_dword v59, s[20:23], 0 offen lds               // 00000000899C: E0511000 8005003B
	s_add_u32 m0, 0x200, s48                                   // 0000000089A4: 807C30FF 00000200
	v_mfma_f32_16x16x32_fp8_fp8 v[80:83], a[134:135], a[14:15], v[80:83]// 0000000089AC: D3F30050 1D421D86
	v_mfma_f32_16x16x32_fp8_fp8 v[84:87], a[128:129], a[16:17], v[84:87]// 0000000089B4: D3F30054 1D522180
	buffer_load_dword v60, s[20:23], 0 offen lds               // 0000000089BC: E0511000 8005003C
	s_add_u32 m0, 0x300, s48                                   // 0000000089C4: 807C30FF 00000300
	v_mfma_f32_16x16x32_fp8_fp8 v[84:87], a[130:131], a[18:19], v[84:87]// 0000000089CC: D3F30054 1D522582
	v_mfma_f32_16x16x32_fp8_fp8 v[84:87], a[132:133], a[20:21], v[84:87]// 0000000089D4: D3F30054 1D522984
	buffer_load_dword v61, s[20:23], 0 offen lds               // 0000000089DC: E0511000 8005003D
	s_add_u32 m0, 0x400, s48                                   // 0000000089E4: 807C30FF 00000400
	v_mfma_f32_16x16x32_fp8_fp8 v[84:87], a[134:135], a[22:23], v[84:87]// 0000000089EC: D3F30054 1D522D86
	v_mfma_f32_16x16x32_fp8_fp8 v[88:91], a[128:129], a[24:25], v[88:91]// 0000000089F4: D3F30058 1D623180
	buffer_load_dword v62, s[20:23], 0 offen lds               // 0000000089FC: E0511000 8005003E
	s_add_u32 m0, 0x500, s48                                   // 000000008A04: 807C30FF 00000500
	v_mfma_f32_16x16x32_fp8_fp8 v[88:91], a[130:131], a[26:27], v[88:91]// 000000008A0C: D3F30058 1D623582
	v_mfma_f32_16x16x32_fp8_fp8 v[88:91], a[132:133], a[28:29], v[88:91]// 000000008A14: D3F30058 1D623984
	buffer_load_dword v63, s[20:23], 0 offen lds               // 000000008A1C: E0511000 8005003F
	s_add_u32 m0, 0x600, s48                                   // 000000008A24: 807C30FF 00000600
	v_mfma_f32_16x16x32_fp8_fp8 v[88:91], a[134:135], a[30:31], v[88:91]// 000000008A2C: D3F30058 1D623D86
	v_mfma_f32_16x16x32_fp8_fp8 v[92:95], a[128:129], a[32:33], v[92:95]// 000000008A34: D3F3005C 1D724180
	buffer_load_dword v64, s[20:23], 0 offen lds               // 000000008A3C: E0511000 80050040
	s_add_u32 m0, 0x700, s48                                   // 000000008A44: 807C30FF 00000700
	v_mfma_f32_16x16x32_fp8_fp8 v[92:95], a[130:131], a[34:35], v[92:95]// 000000008A4C: D3F3005C 1D724582
	v_mfma_f32_16x16x32_fp8_fp8 v[92:95], a[132:133], a[36:37], v[92:95]// 000000008A54: D3F3005C 1D724984
	buffer_load_dword v65, s[20:23], 0 offen lds               // 000000008A5C: E0511000 80050041
	s_add_u32 m0, 0x800, s48                                   // 000000008A64: 807C30FF 00000800
	v_mfma_f32_16x16x32_fp8_fp8 v[92:95], a[134:135], a[38:39], v[92:95]// 000000008A6C: D3F3005C 1D724D86
	v_mfma_f32_16x16x32_fp8_fp8 v[96:99], a[128:129], a[40:41], v[96:99]// 000000008A74: D3F30060 1D825180
	buffer_load_dword v66, s[20:23], 0 offen lds               // 000000008A7C: E0511000 80050042
	s_add_u32 m0, 0x900, s48                                   // 000000008A84: 807C30FF 00000900
	v_mfma_f32_16x16x32_fp8_fp8 v[96:99], a[130:131], a[42:43], v[96:99]// 000000008A8C: D3F30060 1D825582
	v_mfma_f32_16x16x32_fp8_fp8 v[96:99], a[132:133], a[44:45], v[96:99]// 000000008A94: D3F30060 1D825984
	buffer_load_dword v67, s[20:23], 0 offen lds               // 000000008A9C: E0511000 80050043
	s_add_u32 m0, 0xa00, s48                                   // 000000008AA4: 807C30FF 00000A00
	v_mfma_f32_16x16x32_fp8_fp8 v[96:99], a[134:135], a[46:47], v[96:99]// 000000008AAC: D3F30060 1D825D86
	v_mfma_f32_16x16x32_fp8_fp8 v[100:103], a[128:129], a[48:49], v[100:103]// 000000008AB4: D3F30064 1D926180
	buffer_load_dword v68, s[20:23], 0 offen lds               // 000000008ABC: E0511000 80050044
	s_add_u32 m0, 0xb00, s48                                   // 000000008AC4: 807C30FF 00000B00
	v_mfma_f32_16x16x32_fp8_fp8 v[100:103], a[130:131], a[50:51], v[100:103]// 000000008ACC: D3F30064 1D926582
	v_mfma_f32_16x16x32_fp8_fp8 v[100:103], a[132:133], a[52:53], v[100:103]// 000000008AD4: D3F30064 1D926984
	buffer_load_dword v69, s[20:23], 0 offen lds               // 000000008ADC: E0511000 80050045
	s_add_u32 m0, 0xc00, s48                                   // 000000008AE4: 807C30FF 00000C00
	v_mfma_f32_16x16x32_fp8_fp8 v[100:103], a[134:135], a[54:55], v[100:103]// 000000008AEC: D3F30064 1D926D86
	buffer_load_dword v70, s[20:23], 0 offen lds               // 000000008AF4: E0511000 80050046
	s_add_u32 m0, 0xd00, s48                                   // 000000008AFC: 807C30FF 00000D00
	buffer_load_dword v71, s[20:23], 0 offen lds               // 000000008B04: E0511000 80050047
	s_add_u32 m0, 0, s49                                       // 000000008B0C: 807C3180
	s_waitcnt vmcnt(16)                                        // 000000008B10: BF8C4F70
	s_barrier                                                  // 000000008B14: BF8A0000
	v_mfma_f32_16x16x32_fp8_fp8 v[104:107], a[112:113], a[0:1], v[104:107]// 000000008B18: D3F30068 1DA20170
	buffer_load_dwordx4 a[128:131], v72, s[84:87], 0 offen     // 000000008B20: E05C1000 80958048
	v_mfma_f32_16x16x32_fp8_fp8 v[104:107], a[114:115], a[2:3], v[104:107]// 000000008B28: D3F30068 1DA20572
	v_mfma_f32_16x16x32_fp8_fp8 v[104:107], a[116:117], a[4:5], v[104:107]// 000000008B30: D3F30068 1DA20974
	ds_read_b128 a[56:59], v2 offset:28928                     // 000000008B38: DBFE7100 38000002
	ds_read_b128 a[60:63], v2 offset:28992                     // 000000008B40: DBFE7140 3C000002
	v_mfma_f32_16x16x32_fp8_fp8 v[104:107], a[118:119], a[6:7], v[104:107]// 000000008B48: D3F30068 1DA20D76
	v_mfma_f32_16x16x32_fp8_fp8 v[108:111], a[112:113], a[8:9], v[108:111]// 000000008B50: D3F3006C 1DB21170
	buffer_load_dwordx4 a[132:135], v72, s[84:87], 0 offen offset:1024// 000000008B58: E05C1400 80958448
	v_mfma_f32_16x16x32_fp8_fp8 v[108:111], a[114:115], a[10:11], v[108:111]// 000000008B60: D3F3006C 1DB21572
	v_mfma_f32_16x16x32_fp8_fp8 v[108:111], a[116:117], a[12:13], v[108:111]// 000000008B68: D3F3006C 1DB21974
	ds_read_b128 a[64:67], v2 offset:29440                     // 000000008B70: DBFE7300 40000002
	ds_read_b128 a[68:71], v2 offset:29504                     // 000000008B78: DBFE7340 44000002
	v_mfma_f32_16x16x32_fp8_fp8 v[108:111], a[118:119], a[14:15], v[108:111]// 000000008B80: D3F3006C 1DB21D76
	v_mfma_f32_16x16x32_fp8_fp8 v[112:115], a[112:113], a[16:17], v[112:115]// 000000008B88: D3F30070 1DC22170
	v_mfma_f32_16x16x32_fp8_fp8 v[112:115], a[114:115], a[18:19], v[112:115]// 000000008B90: D3F30070 1DC22572
	v_mfma_f32_16x16x32_fp8_fp8 v[112:115], a[116:117], a[20:21], v[112:115]// 000000008B98: D3F30070 1DC22974
	ds_read_b128 a[72:75], v2 offset:29952                     // 000000008BA0: DBFE7500 48000002
	ds_read_b128 a[76:79], v2 offset:30016                     // 000000008BA8: DBFE7540 4C000002
	v_mfma_f32_16x16x32_fp8_fp8 v[112:115], a[118:119], a[22:23], v[112:115]// 000000008BB0: D3F30070 1DC22D76
	v_mfma_f32_16x16x32_fp8_fp8 v[116:119], a[112:113], a[24:25], v[116:119]// 000000008BB8: D3F30074 1DD23170
	v_mfma_f32_16x16x32_fp8_fp8 v[116:119], a[114:115], a[26:27], v[116:119]// 000000008BC0: D3F30074 1DD23572
	v_mfma_f32_16x16x32_fp8_fp8 v[116:119], a[116:117], a[28:29], v[116:119]// 000000008BC8: D3F30074 1DD23974
	ds_read_b128 a[80:83], v2 offset:30464                     // 000000008BD0: DBFE7700 50000002
	ds_read_b128 a[84:87], v2 offset:30528                     // 000000008BD8: DBFE7740 54000002
	v_mfma_f32_16x16x32_fp8_fp8 v[116:119], a[118:119], a[30:31], v[116:119]// 000000008BE0: D3F30074 1DD23D76
	v_mfma_f32_16x16x32_fp8_fp8 v[120:123], a[112:113], a[32:33], v[120:123]// 000000008BE8: D3F30078 1DE24170
	v_mfma_f32_16x16x32_fp8_fp8 v[120:123], a[114:115], a[34:35], v[120:123]// 000000008BF0: D3F30078 1DE24572
	v_mfma_f32_16x16x32_fp8_fp8 v[120:123], a[116:117], a[36:37], v[120:123]// 000000008BF8: D3F30078 1DE24974
	ds_read_b128 a[88:91], v2 offset:30976                     // 000000008C00: DBFE7900 58000002
	ds_read_b128 a[92:95], v2 offset:31040                     // 000000008C08: DBFE7940 5C000002
	v_mfma_f32_16x16x32_fp8_fp8 v[120:123], a[118:119], a[38:39], v[120:123]// 000000008C10: D3F30078 1DE24D76
	v_mfma_f32_16x16x32_fp8_fp8 v[124:127], a[112:113], a[40:41], v[124:127]// 000000008C18: D3F3007C 1DF25170
	s_add_u32 s60, 0x180, s80                                  // 000000008C20: 803C50FF 00000180
	s_cmp_lt_u32 s60, s81                                      // 000000008C28: BF0A513C
	s_cselect_b32 s57, s57, 0                                  // 000000008C2C: 85398039
	v_mfma_f32_16x16x32_fp8_fp8 v[124:127], a[114:115], a[42:43], v[124:127]// 000000008C30: D3F3007C 1DF25572
	s_add_u32 s60, 0x100, s80                                  // 000000008C38: 803C50FF 00000100
	s_cmp_lt_u32 s60, s81                                      // 000000008C40: BF0A513C
	s_cselect_b32 s58, s58, 0                                  // 000000008C44: 853A803A
	v_mfma_f32_16x16x32_fp8_fp8 v[124:127], a[116:117], a[44:45], v[124:127]// 000000008C48: D3F3007C 1DF25974
	ds_read_b128 a[96:99], v2 offset:31488                     // 000000008C50: DBFE7B00 60000002
	ds_read_b128 a[100:103], v2 offset:31552                   // 000000008C58: DBFE7B40 64000002
	s_add_u32 s60, 0x100, s80                                  // 000000008C60: 803C50FF 00000100
	s_cmp_lt_u32 s60, s81                                      // 000000008C68: BF0A513C
	s_cselect_b32 s83, s83, 0                                  // 000000008C6C: 85538053
	v_mfma_f32_16x16x32_fp8_fp8 v[124:127], a[118:119], a[46:47], v[124:127]// 000000008C70: D3F3007C 1DF25D76
	s_add_u32 s24, s58, s24                                    // 000000008C78: 8018183A
	s_addc_u32 s25, 0, s25                                     // 000000008C7C: 82191980
	v_mfma_f32_16x16x32_fp8_fp8 v[128:131], a[112:113], a[48:49], v[128:131]// 000000008C80: D3F30080 1E026170
	s_add_u32 s20, s57, s20                                    // 000000008C88: 80141439
	s_addc_u32 s21, 0, s21                                     // 000000008C8C: 82151580
	v_mfma_f32_16x16x32_fp8_fp8 v[128:131], a[114:115], a[50:51], v[128:131]// 000000008C90: D3F30080 1E026572
	s_add_u32 s84, s83, s84                                    // 000000008C98: 80545453
	s_addc_u32 s85, 0, s85                                     // 000000008C9C: 82555580
	v_mfma_f32_16x16x32_fp8_fp8 v[128:131], a[116:117], a[52:53], v[128:131]// 000000008CA0: D3F30080 1E026974
	ds_read_b128 a[104:107], v2 offset:32000                   // 000000008CA8: DBFE7D00 68000002
	ds_read_b128 a[108:111], v2 offset:32064                   // 000000008CB0: DBFE7D40 6C000002
	v_mfma_f32_16x16x32_fp8_fp8 v[128:131], a[118:119], a[54:55], v[128:131]// 000000008CB8: D3F30080 1E026D76
	s_addk_i32 s80, 0x80                                       // 000000008CC0: B7500080
	s_cmp_lt_i32 s80, s81                                      // 000000008CC4: BF045150
	s_cbranch_scc0 label_199A                                  // 000000008CC8: BF8400E4
	s_waitcnt vmcnt(16) lgkmcnt(0)                             // 000000008CCC: BF8C4070
	v_mfma_f32_16x16x32_fp8_fp8 v[76:79], a[120:121], a[56:57], v[76:79]// 000000008CD0: D3F3004C 1D327178
	buffer_load_dwordx4 a[112:115], v72, s[24:27], 0 offen     // 000000008CD8: E05C1000 80867048
	v_mfma_f32_16x16x32_fp8_fp8 v[76:79], a[122:123], a[58:59], v[76:79]// 000000008CE0: D3F3004C 1D32757A
	v_mfma_f32_16x16x32_fp8_fp8 v[76:79], a[124:125], a[60:61], v[76:79]// 000000008CE8: D3F3004C 1D32797C
	v_mfma_f32_16x16x32_fp8_fp8 v[76:79], a[126:127], a[62:63], v[76:79]// 000000008CF0: D3F3004C 1D327D7E
	v_mfma_f32_16x16x32_fp8_fp8 v[80:83], a[120:121], a[64:65], v[80:83]// 000000008CF8: D3F30050 1D428178
	buffer_load_dwordx4 a[116:119], v72, s[24:27], 0 offen offset:1024// 000000008D00: E05C1400 80867448
	buffer_load_dword v58, s[20:23], 0 offen lds               // 000000008D08: E0511000 8005003A
	s_add_u32 m0, 0x100, s49                                   // 000000008D10: 807C31FF 00000100
	v_mfma_f32_16x16x32_fp8_fp8 v[80:83], a[122:123], a[66:67], v[80:83]// 000000008D18: D3F30050 1D42857A
	v_mfma_f32_16x16x32_fp8_fp8 v[80:83], a[124:125], a[68:69], v[80:83]// 000000008D20: D3F30050 1D42897C
	buffer_load_dword v59, s[20:23], 0 offen lds               // 000000008D28: E0511000 8005003B
	s_add_u32 m0, 0x200, s49                                   // 000000008D30: 807C31FF 00000200
	v_mfma_f32_16x16x32_fp8_fp8 v[80:83], a[126:127], a[70:71], v[80:83]// 000000008D38: D3F30050 1D428D7E
	v_mfma_f32_16x16x32_fp8_fp8 v[84:87], a[120:121], a[72:73], v[84:87]// 000000008D40: D3F30054 1D529178
	buffer_load_dword v60, s[20:23], 0 offen lds               // 000000008D48: E0511000 8005003C
	s_add_u32 m0, 0x300, s49                                   // 000000008D50: 807C31FF 00000300
	v_mfma_f32_16x16x32_fp8_fp8 v[84:87], a[122:123], a[74:75], v[84:87]// 000000008D58: D3F30054 1D52957A
	v_mfma_f32_16x16x32_fp8_fp8 v[84:87], a[124:125], a[76:77], v[84:87]// 000000008D60: D3F30054 1D52997C
	buffer_load_dword v61, s[20:23], 0 offen lds               // 000000008D68: E0511000 8005003D
	s_add_u32 m0, 0x400, s49                                   // 000000008D70: 807C31FF 00000400
	v_mfma_f32_16x16x32_fp8_fp8 v[84:87], a[126:127], a[78:79], v[84:87]// 000000008D78: D3F30054 1D529D7E
	v_mfma_f32_16x16x32_fp8_fp8 v[88:91], a[120:121], a[80:81], v[88:91]// 000000008D80: D3F30058 1D62A178
	buffer_load_dword v62, s[20:23], 0 offen lds               // 000000008D88: E0511000 8005003E
	s_add_u32 m0, 0x500, s49                                   // 000000008D90: 807C31FF 00000500
	v_mfma_f32_16x16x32_fp8_fp8 v[88:91], a[122:123], a[82:83], v[88:91]// 000000008D98: D3F30058 1D62A57A
	v_mfma_f32_16x16x32_fp8_fp8 v[88:91], a[124:125], a[84:85], v[88:91]// 000000008DA0: D3F30058 1D62A97C
	buffer_load_dword v63, s[20:23], 0 offen lds               // 000000008DA8: E0511000 8005003F
	s_add_u32 m0, 0x600, s49                                   // 000000008DB0: 807C31FF 00000600
	v_mfma_f32_16x16x32_fp8_fp8 v[88:91], a[126:127], a[86:87], v[88:91]// 000000008DB8: D3F30058 1D62AD7E
	v_mfma_f32_16x16x32_fp8_fp8 v[92:95], a[120:121], a[88:89], v[92:95]// 000000008DC0: D3F3005C 1D72B178
	buffer_load_dword v64, s[20:23], 0 offen lds               // 000000008DC8: E0511000 80050040
	s_add_u32 m0, 0x700, s49                                   // 000000008DD0: 807C31FF 00000700
	v_mfma_f32_16x16x32_fp8_fp8 v[92:95], a[122:123], a[90:91], v[92:95]// 000000008DD8: D3F3005C 1D72B57A
	v_mfma_f32_16x16x32_fp8_fp8 v[92:95], a[124:125], a[92:93], v[92:95]// 000000008DE0: D3F3005C 1D72B97C
	buffer_load_dword v65, s[20:23], 0 offen lds               // 000000008DE8: E0511000 80050041
	s_add_u32 m0, 0x800, s49                                   // 000000008DF0: 807C31FF 00000800
	v_mfma_f32_16x16x32_fp8_fp8 v[92:95], a[126:127], a[94:95], v[92:95]// 000000008DF8: D3F3005C 1D72BD7E
	v_mfma_f32_16x16x32_fp8_fp8 v[96:99], a[120:121], a[96:97], v[96:99]// 000000008E00: D3F30060 1D82C178
	buffer_load_dword v66, s[20:23], 0 offen lds               // 000000008E08: E0511000 80050042
	s_add_u32 m0, 0x900, s49                                   // 000000008E10: 807C31FF 00000900
	v_mfma_f32_16x16x32_fp8_fp8 v[96:99], a[122:123], a[98:99], v[96:99]// 000000008E18: D3F30060 1D82C57A
	v_mfma_f32_16x16x32_fp8_fp8 v[96:99], a[124:125], a[100:101], v[96:99]// 000000008E20: D3F30060 1D82C97C
	buffer_load_dword v67, s[20:23], 0 offen lds               // 000000008E28: E0511000 80050043
	s_add_u32 m0, 0xa00, s49                                   // 000000008E30: 807C31FF 00000A00
	v_mfma_f32_16x16x32_fp8_fp8 v[96:99], a[126:127], a[102:103], v[96:99]// 000000008E38: D3F30060 1D82CD7E
	v_mfma_f32_16x16x32_fp8_fp8 v[100:103], a[120:121], a[104:105], v[100:103]// 000000008E40: D3F30064 1D92D178
	buffer_load_dword v68, s[20:23], 0 offen lds               // 000000008E48: E0511000 80050044
	s_add_u32 m0, 0xb00, s49                                   // 000000008E50: 807C31FF 00000B00
	v_mfma_f32_16x16x32_fp8_fp8 v[100:103], a[122:123], a[106:107], v[100:103]// 000000008E58: D3F30064 1D92D57A
	v_mfma_f32_16x16x32_fp8_fp8 v[100:103], a[124:125], a[108:109], v[100:103]// 000000008E60: D3F30064 1D92D97C
	buffer_load_dword v69, s[20:23], 0 offen lds               // 000000008E68: E0511000 80050045
	s_add_u32 m0, 0xc00, s49                                   // 000000008E70: 807C31FF 00000C00
	v_mfma_f32_16x16x32_fp8_fp8 v[100:103], a[126:127], a[110:111], v[100:103]// 000000008E78: D3F30064 1D92DD7E
	buffer_load_dword v70, s[20:23], 0 offen lds               // 000000008E80: E0511000 80050046
	s_add_u32 m0, 0xd00, s49                                   // 000000008E88: 807C31FF 00000D00
	buffer_load_dword v71, s[20:23], 0 offen lds               // 000000008E90: E0511000 80050047
	s_add_u32 m0, 0, s50                                       // 000000008E98: 807C3280
	s_waitcnt vmcnt(16)                                        // 000000008E9C: BF8C4F70
	s_barrier                                                  // 000000008EA0: BF8A0000
	v_mfma_f32_16x16x32_fp8_fp8 v[104:107], a[128:129], a[56:57], v[104:107]// 000000008EA4: D3F30068 1DA27180
	buffer_load_dwordx4 a[120:123], v72, s[84:87], 0 offen     // 000000008EAC: E05C1000 80957848
	v_mfma_f32_16x16x32_fp8_fp8 v[104:107], a[130:131], a[58:59], v[104:107]// 000000008EB4: D3F30068 1DA27582
	v_mfma_f32_16x16x32_fp8_fp8 v[104:107], a[132:133], a[60:61], v[104:107]// 000000008EBC: D3F30068 1DA27984
	ds_read_b128 a[0:3], v2                                    // 000000008EC4: DBFE0000 00000002
	ds_read_b128 a[4:7], v2 offset:64                          // 000000008ECC: DBFE0040 04000002
	v_mfma_f32_16x16x32_fp8_fp8 v[104:107], a[134:135], a[62:63], v[104:107]// 000000008ED4: D3F30068 1DA27D86
	v_mfma_f32_16x16x32_fp8_fp8 v[108:111], a[128:129], a[64:65], v[108:111]// 000000008EDC: D3F3006C 1DB28180
	buffer_load_dwordx4 a[124:127], v72, s[84:87], 0 offen offset:1024// 000000008EE4: E05C1400 80957C48
	v_mfma_f32_16x16x32_fp8_fp8 v[108:111], a[130:131], a[66:67], v[108:111]// 000000008EEC: D3F3006C 1DB28582
	v_mfma_f32_16x16x32_fp8_fp8 v[108:111], a[132:133], a[68:69], v[108:111]// 000000008EF4: D3F3006C 1DB28984
	ds_read_b128 a[8:11], v2 offset:512                        // 000000008EFC: DBFE0200 08000002
	ds_read_b128 a[12:15], v2 offset:576                       // 000000008F04: DBFE0240 0C000002
	v_mfma_f32_16x16x32_fp8_fp8 v[108:111], a[134:135], a[70:71], v[108:111]// 000000008F0C: D3F3006C 1DB28D86
	v_mfma_f32_16x16x32_fp8_fp8 v[112:115], a[128:129], a[72:73], v[112:115]// 000000008F14: D3F30070 1DC29180
	v_mfma_f32_16x16x32_fp8_fp8 v[112:115], a[130:131], a[74:75], v[112:115]// 000000008F1C: D3F30070 1DC29582
	v_mfma_f32_16x16x32_fp8_fp8 v[112:115], a[132:133], a[76:77], v[112:115]// 000000008F24: D3F30070 1DC29984
	ds_read_b128 a[16:19], v2 offset:1024                      // 000000008F2C: DBFE0400 10000002
	ds_read_b128 a[20:23], v2 offset:1088                      // 000000008F34: DBFE0440 14000002
	v_mfma_f32_16x16x32_fp8_fp8 v[112:115], a[134:135], a[78:79], v[112:115]// 000000008F3C: D3F30070 1DC29D86
	v_mfma_f32_16x16x32_fp8_fp8 v[116:119], a[128:129], a[80:81], v[116:119]// 000000008F44: D3F30074 1DD2A180
	v_mfma_f32_16x16x32_fp8_fp8 v[116:119], a[130:131], a[82:83], v[116:119]// 000000008F4C: D3F30074 1DD2A582
	v_mfma_f32_16x16x32_fp8_fp8 v[116:119], a[132:133], a[84:85], v[116:119]// 000000008F54: D3F30074 1DD2A984
	ds_read_b128 a[24:27], v2 offset:1536                      // 000000008F5C: DBFE0600 18000002
	ds_read_b128 a[28:31], v2 offset:1600                      // 000000008F64: DBFE0640 1C000002
	v_mfma_f32_16x16x32_fp8_fp8 v[116:119], a[134:135], a[86:87], v[116:119]// 000000008F6C: D3F30074 1DD2AD86
	v_mfma_f32_16x16x32_fp8_fp8 v[120:123], a[128:129], a[88:89], v[120:123]// 000000008F74: D3F30078 1DE2B180
	v_mfma_f32_16x16x32_fp8_fp8 v[120:123], a[130:131], a[90:91], v[120:123]// 000000008F7C: D3F30078 1DE2B582
	v_mfma_f32_16x16x32_fp8_fp8 v[120:123], a[132:133], a[92:93], v[120:123]// 000000008F84: D3F30078 1DE2B984
	ds_read_b128 a[32:35], v2 offset:2048                      // 000000008F8C: DBFE0800 20000002
	ds_read_b128 a[36:39], v2 offset:2112                      // 000000008F94: DBFE0840 24000002
	v_mfma_f32_16x16x32_fp8_fp8 v[120:123], a[134:135], a[94:95], v[120:123]// 000000008F9C: D3F30078 1DE2BD86
	v_mfma_f32_16x16x32_fp8_fp8 v[124:127], a[128:129], a[96:97], v[124:127]// 000000008FA4: D3F3007C 1DF2C180
	s_add_u32 s60, 0x180, s80                                  // 000000008FAC: 803C50FF 00000180
	s_cmp_lt_u32 s60, s81                                      // 000000008FB4: BF0A513C
	s_cselect_b32 s57, s57, 0                                  // 000000008FB8: 85398039
	v_mfma_f32_16x16x32_fp8_fp8 v[124:127], a[130:131], a[98:99], v[124:127]// 000000008FBC: D3F3007C 1DF2C582
	s_add_u32 s60, 0x100, s80                                  // 000000008FC4: 803C50FF 00000100
	s_cmp_lt_u32 s60, s81                                      // 000000008FCC: BF0A513C
	s_cselect_b32 s58, s58, 0                                  // 000000008FD0: 853A803A
	v_mfma_f32_16x16x32_fp8_fp8 v[124:127], a[132:133], a[100:101], v[124:127]// 000000008FD4: D3F3007C 1DF2C984
	ds_read_b128 a[40:43], v2 offset:2560                      // 000000008FDC: DBFE0A00 28000002
	ds_read_b128 a[44:47], v2 offset:2624                      // 000000008FE4: DBFE0A40 2C000002
	s_add_u32 s60, 0x100, s80                                  // 000000008FEC: 803C50FF 00000100
	s_cmp_lt_u32 s60, s81                                      // 000000008FF4: BF0A513C
	s_cselect_b32 s83, s83, 0                                  // 000000008FF8: 85538053
	v_mfma_f32_16x16x32_fp8_fp8 v[124:127], a[134:135], a[102:103], v[124:127]// 000000008FFC: D3F3007C 1DF2CD86
	s_add_u32 s24, s58, s24                                    // 000000009004: 8018183A
	s_addc_u32 s25, 0, s25                                     // 000000009008: 82191980
	v_mfma_f32_16x16x32_fp8_fp8 v[128:131], a[128:129], a[104:105], v[128:131]// 00000000900C: D3F30080 1E02D180
	s_add_u32 s20, s57, s20                                    // 000000009014: 80141439
	s_addc_u32 s21, 0, s21                                     // 000000009018: 82151580
	v_mfma_f32_16x16x32_fp8_fp8 v[128:131], a[130:131], a[106:107], v[128:131]// 00000000901C: D3F30080 1E02D582
	s_add_u32 s84, s83, s84                                    // 000000009024: 80545453
	s_addc_u32 s85, 0, s85                                     // 000000009028: 82555580
	v_mfma_f32_16x16x32_fp8_fp8 v[128:131], a[132:133], a[108:109], v[128:131]// 00000000902C: D3F30080 1E02D984
	ds_read_b128 a[48:51], v2 offset:3072                      // 000000009034: DBFE0C00 30000002
	ds_read_b128 a[52:55], v2 offset:3136                      // 00000000903C: DBFE0C40 34000002
	v_mfma_f32_16x16x32_fp8_fp8 v[128:131], a[134:135], a[110:111], v[128:131]// 000000009044: D3F30080 1E02DD86
	s_addk_i32 s80, 0x80                                       // 00000000904C: B7500080
	s_cmp_lt_i32 s80, s81                                      // 000000009050: BF045150
	s_cbranch_scc0 label_199A                                  // 000000009054: BF840001
	s_branch label_1447                                        // 000000009058: BF82FAAD

000000000000905c <label_199A>:
	v_mul_f32_dpp v76, v24, v76 row_newbcast:0 row_mask:0xf bank_mask:0xf// 00000000905C: 0A9898FA FF015018
	v_mul_f32_dpp v77, v24, v77 row_newbcast:1 row_mask:0xf bank_mask:0xf// 000000009064: 0A9A9AFA FF015118
	v_mul_f32_dpp v78, v24, v78 row_newbcast:2 row_mask:0xf bank_mask:0xf// 00000000906C: 0A9C9CFA FF015218
	v_mul_f32_dpp v79, v24, v79 row_newbcast:3 row_mask:0xf bank_mask:0xf// 000000009074: 0A9E9EFA FF015318
	v_mul_f32_dpp v80, v24, v80 row_newbcast:0 row_mask:0xf bank_mask:0xf// 00000000907C: 0AA0A0FA FF015018
	v_mul_f32_dpp v81, v24, v81 row_newbcast:1 row_mask:0xf bank_mask:0xf// 000000009084: 0AA2A2FA FF015118
	v_mul_f32_dpp v82, v24, v82 row_newbcast:2 row_mask:0xf bank_mask:0xf// 00000000908C: 0AA4A4FA FF015218
	v_mul_f32_dpp v83, v24, v83 row_newbcast:3 row_mask:0xf bank_mask:0xf// 000000009094: 0AA6A6FA FF015318
	v_mul_f32_dpp v84, v24, v84 row_newbcast:0 row_mask:0xf bank_mask:0xf// 00000000909C: 0AA8A8FA FF015018
	v_mul_f32_dpp v85, v24, v85 row_newbcast:1 row_mask:0xf bank_mask:0xf// 0000000090A4: 0AAAAAFA FF015118
	v_mul_f32_dpp v86, v24, v86 row_newbcast:2 row_mask:0xf bank_mask:0xf// 0000000090AC: 0AACACFA FF015218
	v_mul_f32_dpp v87, v24, v87 row_newbcast:3 row_mask:0xf bank_mask:0xf// 0000000090B4: 0AAEAEFA FF015318
	v_mul_f32_dpp v88, v24, v88 row_newbcast:0 row_mask:0xf bank_mask:0xf// 0000000090BC: 0AB0B0FA FF015018
	v_mul_f32_dpp v89, v24, v89 row_newbcast:1 row_mask:0xf bank_mask:0xf// 0000000090C4: 0AB2B2FA FF015118
	v_mul_f32_dpp v90, v24, v90 row_newbcast:2 row_mask:0xf bank_mask:0xf// 0000000090CC: 0AB4B4FA FF015218
	v_mul_f32_dpp v91, v24, v91 row_newbcast:3 row_mask:0xf bank_mask:0xf// 0000000090D4: 0AB6B6FA FF015318
	v_mul_f32_dpp v92, v24, v92 row_newbcast:0 row_mask:0xf bank_mask:0xf// 0000000090DC: 0AB8B8FA FF015018
	v_mul_f32_dpp v93, v24, v93 row_newbcast:1 row_mask:0xf bank_mask:0xf// 0000000090E4: 0ABABAFA FF015118
	v_mul_f32_dpp v94, v24, v94 row_newbcast:2 row_mask:0xf bank_mask:0xf// 0000000090EC: 0ABCBCFA FF015218
	v_mul_f32_dpp v95, v24, v95 row_newbcast:3 row_mask:0xf bank_mask:0xf// 0000000090F4: 0ABEBEFA FF015318
	v_mul_f32_dpp v96, v24, v96 row_newbcast:0 row_mask:0xf bank_mask:0xf// 0000000090FC: 0AC0C0FA FF015018
	v_mul_f32_dpp v97, v24, v97 row_newbcast:1 row_mask:0xf bank_mask:0xf// 000000009104: 0AC2C2FA FF015118
	v_mul_f32_dpp v98, v24, v98 row_newbcast:2 row_mask:0xf bank_mask:0xf// 00000000910C: 0AC4C4FA FF015218
	v_mul_f32_dpp v99, v24, v99 row_newbcast:3 row_mask:0xf bank_mask:0xf// 000000009114: 0AC6C6FA FF015318
	v_mul_f32_dpp v100, v24, v100 row_newbcast:0 row_mask:0xf bank_mask:0xf// 00000000911C: 0AC8C8FA FF015018
	v_mul_f32_dpp v101, v24, v101 row_newbcast:1 row_mask:0xf bank_mask:0xf// 000000009124: 0ACACAFA FF015118
	v_mul_f32_dpp v102, v24, v102 row_newbcast:2 row_mask:0xf bank_mask:0xf// 00000000912C: 0ACCCCFA FF015218
	v_mul_f32_dpp v103, v24, v103 row_newbcast:3 row_mask:0xf bank_mask:0xf// 000000009134: 0ACECEFA FF015318
	v_mul_f32_dpp v104, v27, v104 row_newbcast:0 row_mask:0xf bank_mask:0xf// 00000000913C: 0AD0D0FA FF01501B
	v_mul_f32_dpp v105, v27, v105 row_newbcast:1 row_mask:0xf bank_mask:0xf// 000000009144: 0AD2D2FA FF01511B
	v_mul_f32_dpp v106, v27, v106 row_newbcast:2 row_mask:0xf bank_mask:0xf// 00000000914C: 0AD4D4FA FF01521B
	v_mul_f32_dpp v107, v27, v107 row_newbcast:3 row_mask:0xf bank_mask:0xf// 000000009154: 0AD6D6FA FF01531B
	v_mul_f32_dpp v108, v27, v108 row_newbcast:0 row_mask:0xf bank_mask:0xf// 00000000915C: 0AD8D8FA FF01501B
	v_mul_f32_dpp v109, v27, v109 row_newbcast:1 row_mask:0xf bank_mask:0xf// 000000009164: 0ADADAFA FF01511B
	v_mul_f32_dpp v110, v27, v110 row_newbcast:2 row_mask:0xf bank_mask:0xf// 00000000916C: 0ADCDCFA FF01521B
	v_mul_f32_dpp v111, v27, v111 row_newbcast:3 row_mask:0xf bank_mask:0xf// 000000009174: 0ADEDEFA FF01531B
	v_mul_f32_dpp v112, v27, v112 row_newbcast:0 row_mask:0xf bank_mask:0xf// 00000000917C: 0AE0E0FA FF01501B
	v_mul_f32_dpp v113, v27, v113 row_newbcast:1 row_mask:0xf bank_mask:0xf// 000000009184: 0AE2E2FA FF01511B
	v_mul_f32_dpp v114, v27, v114 row_newbcast:2 row_mask:0xf bank_mask:0xf// 00000000918C: 0AE4E4FA FF01521B
	v_mul_f32_dpp v115, v27, v115 row_newbcast:3 row_mask:0xf bank_mask:0xf// 000000009194: 0AE6E6FA FF01531B
	v_mul_f32_dpp v116, v27, v116 row_newbcast:0 row_mask:0xf bank_mask:0xf// 00000000919C: 0AE8E8FA FF01501B
	v_mul_f32_dpp v117, v27, v117 row_newbcast:1 row_mask:0xf bank_mask:0xf// 0000000091A4: 0AEAEAFA FF01511B
	v_mul_f32_dpp v118, v27, v118 row_newbcast:2 row_mask:0xf bank_mask:0xf// 0000000091AC: 0AECECFA FF01521B
	v_mul_f32_dpp v119, v27, v119 row_newbcast:3 row_mask:0xf bank_mask:0xf// 0000000091B4: 0AEEEEFA FF01531B
	v_mul_f32_dpp v120, v27, v120 row_newbcast:0 row_mask:0xf bank_mask:0xf// 0000000091BC: 0AF0F0FA FF01501B
	v_mul_f32_dpp v121, v27, v121 row_newbcast:1 row_mask:0xf bank_mask:0xf// 0000000091C4: 0AF2F2FA FF01511B
	v_mul_f32_dpp v122, v27, v122 row_newbcast:2 row_mask:0xf bank_mask:0xf// 0000000091CC: 0AF4F4FA FF01521B
	v_mul_f32_dpp v123, v27, v123 row_newbcast:3 row_mask:0xf bank_mask:0xf// 0000000091D4: 0AF6F6FA FF01531B
	v_mul_f32_dpp v124, v27, v124 row_newbcast:0 row_mask:0xf bank_mask:0xf// 0000000091DC: 0AF8F8FA FF01501B
	v_mul_f32_dpp v125, v27, v125 row_newbcast:1 row_mask:0xf bank_mask:0xf// 0000000091E4: 0AFAFAFA FF01511B
	v_mul_f32_dpp v126, v27, v126 row_newbcast:2 row_mask:0xf bank_mask:0xf// 0000000091EC: 0AFCFCFA FF01521B
	v_mul_f32_dpp v127, v27, v127 row_newbcast:3 row_mask:0xf bank_mask:0xf// 0000000091F4: 0AFEFEFA FF01531B
	v_mul_f32_dpp v128, v27, v128 row_newbcast:0 row_mask:0xf bank_mask:0xf// 0000000091FC: 0B0100FA FF01501B
	v_mul_f32_dpp v129, v27, v129 row_newbcast:1 row_mask:0xf bank_mask:0xf// 000000009204: 0B0302FA FF01511B
	v_mul_f32_dpp v130, v27, v130 row_newbcast:2 row_mask:0xf bank_mask:0xf// 00000000920C: 0B0504FA FF01521B
	v_mul_f32_dpp v131, v27, v131 row_newbcast:3 row_mask:0xf bank_mask:0xf// 000000009214: 0B0706FA FF01531B
	v_mov_b32_e32 v4, v37                                      // 00000000921C: 7E080325
	v_mov_b32_e32 v5, v4                                       // 000000009220: 7E0A0304
	v_pk_mul_f32 v[76:77], v[4:5], v[76:77]                    // 000000009224: D3B1404C 18029904
	v_pk_mul_f32 v[104:105], v[4:5], v[104:105]                // 00000000922C: D3B14068 1802D104
	v_pk_mul_f32 v[78:79], v[4:5], v[78:79]                    // 000000009234: D3B1404E 18029D04
	v_pk_mul_f32 v[106:107], v[4:5], v[106:107]                // 00000000923C: D3B1406A 1802D504
	v_mov_b32_e32 v4, v38                                      // 000000009244: 7E080326
	v_mov_b32_e32 v5, v4                                       // 000000009248: 7E0A0304
	v_pk_mul_f32 v[80:81], v[4:5], v[80:81]                    // 00000000924C: D3B14050 1802A104
	v_pk_mul_f32 v[108:109], v[4:5], v[108:109]                // 000000009254: D3B1406C 1802D904
	v_pk_mul_f32 v[82:83], v[4:5], v[82:83]                    // 00000000925C: D3B14052 1802A504
	v_pk_mul_f32 v[110:111], v[4:5], v[110:111]                // 000000009264: D3B1406E 1802DD04
	v_mov_b32_e32 v4, v39                                      // 00000000926C: 7E080327
	v_mov_b32_e32 v5, v4                                       // 000000009270: 7E0A0304
	v_pk_mul_f32 v[84:85], v[4:5], v[84:85]                    // 000000009274: D3B14054 1802A904
	v_pk_mul_f32 v[112:113], v[4:5], v[112:113]                // 00000000927C: D3B14070 1802E104
	v_pk_mul_f32 v[86:87], v[4:5], v[86:87]                    // 000000009284: D3B14056 1802AD04
	v_pk_mul_f32 v[114:115], v[4:5], v[114:115]                // 00000000928C: D3B14072 1802E504
	v_mov_b32_e32 v4, v40                                      // 000000009294: 7E080328
	v_mov_b32_e32 v5, v4                                       // 000000009298: 7E0A0304
	v_pk_mul_f32 v[88:89], v[4:5], v[88:89]                    // 00000000929C: D3B14058 1802B104
	v_pk_mul_f32 v[116:117], v[4:5], v[116:117]                // 0000000092A4: D3B14074 1802E904
	v_pk_mul_f32 v[90:91], v[4:5], v[90:91]                    // 0000000092AC: D3B1405A 1802B504
	v_pk_mul_f32 v[118:119], v[4:5], v[118:119]                // 0000000092B4: D3B14076 1802ED04
	v_mov_b32_e32 v4, v41                                      // 0000000092BC: 7E080329
	v_mov_b32_e32 v5, v4                                       // 0000000092C0: 7E0A0304
	v_pk_mul_f32 v[92:93], v[4:5], v[92:93]                    // 0000000092C4: D3B1405C 1802B904
	v_pk_mul_f32 v[120:121], v[4:5], v[120:121]                // 0000000092CC: D3B14078 1802F104
	v_pk_mul_f32 v[94:95], v[4:5], v[94:95]                    // 0000000092D4: D3B1405E 1802BD04
	v_pk_mul_f32 v[122:123], v[4:5], v[122:123]                // 0000000092DC: D3B1407A 1802F504
	v_mov_b32_e32 v4, v42                                      // 0000000092E4: 7E08032A
	v_mov_b32_e32 v5, v4                                       // 0000000092E8: 7E0A0304
	v_pk_mul_f32 v[96:97], v[4:5], v[96:97]                    // 0000000092EC: D3B14060 1802C104
	v_pk_mul_f32 v[124:125], v[4:5], v[124:125]                // 0000000092F4: D3B1407C 1802F904
	v_pk_mul_f32 v[98:99], v[4:5], v[98:99]                    // 0000000092FC: D3B14062 1802C504
	v_pk_mul_f32 v[126:127], v[4:5], v[126:127]                // 000000009304: D3B1407E 1802FD04
	v_mov_b32_e32 v4, v43                                      // 00000000930C: 7E08032B
	v_mov_b32_e32 v5, v4                                       // 000000009310: 7E0A0304
	v_pk_mul_f32 v[100:101], v[4:5], v[100:101]                // 000000009314: D3B14064 1802C904
	v_pk_mul_f32 v[128:129], v[4:5], v[128:129]                // 00000000931C: D3B14080 18030104
	v_pk_mul_f32 v[102:103], v[4:5], v[102:103]                // 000000009324: D3B14066 1802CD04
	v_pk_mul_f32 v[130:131], v[4:5], v[130:131]                // 00000000932C: D3B14082 18030504
	s_cmp_eq_u32 s88, 0                                        // 000000009334: BF068058
	s_cbranch_scc0 label_1F89                                  // 000000009338: BF840537
	s_cmp_eq_u32 s89, 0                                        // 00000000933C: BF068059
	s_cbranch_scc1 label_1B71                                  // 000000009340: BF85011D
	v_mov_b32_e32 v8, v1                                       // 000000009344: 7E100301
	v_mov_b32_e32 v9, v1                                       // 000000009348: 7E120301
	s_mov_b32 s60, s6                                          // 00000000934C: BEBC0006
	s_mov_b32 s61, s6                                          // 000000009350: BEBD0006
	v_pk_mul_f32 v[4:5], v[76:77], v[76:77]                    // 000000009354: D3B14004 1802994C
	v_pk_mul_f32 v[6:7], v[78:79], v[78:79]                    // 00000000935C: D3B14006 18029D4E
	v_pk_fma_f32 v[4:5], v[4:5], s[78:79], v[8:9]              // 000000009364: D3B04004 1C209D04
	v_pk_fma_f32 v[6:7], v[6:7], s[78:79], v[8:9]              // 00000000936C: D3B04006 1C209D06
	v_pk_mul_f32 v[4:5], v[4:5], v[76:77]                      // 000000009374: D3B14004 18029904
	v_pk_mul_f32 v[6:7], v[6:7], v[78:79]                      // 00000000937C: D3B14006 18029D06
	v_pk_mul_f32 v[4:5], v[4:5], s[60:61]                      // 000000009384: D3B14004 18007904
	v_pk_mul_f32 v[6:7], v[6:7], s[60:61]                      // 00000000938C: D3B14006 18007906
	v_exp_f32_e32 v4, v4                                       // 000000009394: 7E084104
	v_exp_f32_e32 v5, v5                                       // 000000009398: 7E0A4105
	v_exp_f32_e32 v6, v6                                       // 00000000939C: 7E0C4106
	v_exp_f32_e32 v7, v7                                       // 0000000093A0: 7E0E4107
	v_add_f32_e64 v4, v4, 1.0                                  // 0000000093A4: D1010004 0001E504
	v_add_f32_e64 v5, v5, 1.0                                  // 0000000093AC: D1010005 0001E505
	v_add_f32_e64 v6, v6, 1.0                                  // 0000000093B4: D1010006 0001E506
	v_add_f32_e64 v7, v7, 1.0                                  // 0000000093BC: D1010007 0001E507
	v_rcp_f32_e32 v4, v4                                       // 0000000093C4: 7E084504
	v_rcp_f32_e32 v5, v5                                       // 0000000093C8: 7E0A4505
	v_rcp_f32_e32 v6, v6                                       // 0000000093CC: 7E0C4506
	v_rcp_f32_e32 v7, v7                                       // 0000000093D0: 7E0E4507
	v_mul_f32_e32 v76, v76, v4                                 // 0000000093D4: 0A98094C
	v_mul_f32_e32 v77, v77, v5                                 // 0000000093D8: 0A9A0B4D
	v_mul_f32_e32 v78, v78, v6                                 // 0000000093DC: 0A9C0D4E
	v_mul_f32_e32 v79, v79, v7                                 // 0000000093E0: 0A9E0F4F
	v_mul_f32_e32 v76, v76, v104                               // 0000000093E4: 0A98D14C
	v_mul_f32_e32 v77, v77, v105                               // 0000000093E8: 0A9AD34D
	v_mul_f32_e32 v78, v78, v106                               // 0000000093EC: 0A9CD54E
	v_mul_f32_e32 v79, v79, v107                               // 0000000093F0: 0A9ED74F
	v_pk_mul_f32 v[4:5], v[80:81], v[80:81]                    // 0000000093F4: D3B14004 1802A150
	v_pk_mul_f32 v[6:7], v[82:83], v[82:83]                    // 0000000093FC: D3B14006 1802A552
	v_pk_fma_f32 v[4:5], v[4:5], s[78:79], v[8:9]              // 000000009404: D3B04004 1C209D04
	v_pk_fma_f32 v[6:7], v[6:7], s[78:79], v[8:9]              // 00000000940C: D3B04006 1C209D06
	v_pk_mul_f32 v[4:5], v[4:5], v[80:81]                      // 000000009414: D3B14004 1802A104
	v_pk_mul_f32 v[6:7], v[6:7], v[82:83]                      // 00000000941C: D3B14006 1802A506
	v_pk_mul_f32 v[4:5], v[4:5], s[60:61]                      // 000000009424: D3B14004 18007904
	v_pk_mul_f32 v[6:7], v[6:7], s[60:61]                      // 00000000942C: D3B14006 18007906
	v_exp_f32_e32 v4, v4                                       // 000000009434: 7E084104
	v_exp_f32_e32 v5, v5                                       // 000000009438: 7E0A4105
	v_exp_f32_e32 v6, v6                                       // 00000000943C: 7E0C4106
	v_exp_f32_e32 v7, v7                                       // 000000009440: 7E0E4107
	v_add_f32_e64 v4, v4, 1.0                                  // 000000009444: D1010004 0001E504
	v_add_f32_e64 v5, v5, 1.0                                  // 00000000944C: D1010005 0001E505
	v_add_f32_e64 v6, v6, 1.0                                  // 000000009454: D1010006 0001E506
	v_add_f32_e64 v7, v7, 1.0                                  // 00000000945C: D1010007 0001E507
	v_rcp_f32_e32 v4, v4                                       // 000000009464: 7E084504
	v_rcp_f32_e32 v5, v5                                       // 000000009468: 7E0A4505
	v_rcp_f32_e32 v6, v6                                       // 00000000946C: 7E0C4506
	v_rcp_f32_e32 v7, v7                                       // 000000009470: 7E0E4507
	v_mul_f32_e32 v80, v80, v4                                 // 000000009474: 0AA00950
	v_mul_f32_e32 v81, v81, v5                                 // 000000009478: 0AA20B51
	v_mul_f32_e32 v82, v82, v6                                 // 00000000947C: 0AA40D52
	v_mul_f32_e32 v83, v83, v7                                 // 000000009480: 0AA60F53
	v_mul_f32_e32 v80, v80, v108                               // 000000009484: 0AA0D950
	v_mul_f32_e32 v81, v81, v109                               // 000000009488: 0AA2DB51
	v_mul_f32_e32 v82, v82, v110                               // 00000000948C: 0AA4DD52
	v_mul_f32_e32 v83, v83, v111                               // 000000009490: 0AA6DF53
	v_pk_mul_f32 v[4:5], v[84:85], v[84:85]                    // 000000009494: D3B14004 1802A954
	v_pk_mul_f32 v[6:7], v[86:87], v[86:87]                    // 00000000949C: D3B14006 1802AD56
	v_pk_fma_f32 v[4:5], v[4:5], s[78:79], v[8:9]              // 0000000094A4: D3B04004 1C209D04
	v_pk_fma_f32 v[6:7], v[6:7], s[78:79], v[8:9]              // 0000000094AC: D3B04006 1C209D06
	v_pk_mul_f32 v[4:5], v[4:5], v[84:85]                      // 0000000094B4: D3B14004 1802A904
	v_pk_mul_f32 v[6:7], v[6:7], v[86:87]                      // 0000000094BC: D3B14006 1802AD06
	v_pk_mul_f32 v[4:5], v[4:5], s[60:61]                      // 0000000094C4: D3B14004 18007904
	v_pk_mul_f32 v[6:7], v[6:7], s[60:61]                      // 0000000094CC: D3B14006 18007906
	v_exp_f32_e32 v4, v4                                       // 0000000094D4: 7E084104
	v_exp_f32_e32 v5, v5                                       // 0000000094D8: 7E0A4105
	v_exp_f32_e32 v6, v6                                       // 0000000094DC: 7E0C4106
	v_exp_f32_e32 v7, v7                                       // 0000000094E0: 7E0E4107
	v_add_f32_e64 v4, v4, 1.0                                  // 0000000094E4: D1010004 0001E504
	v_add_f32_e64 v5, v5, 1.0                                  // 0000000094EC: D1010005 0001E505
	v_add_f32_e64 v6, v6, 1.0                                  // 0000000094F4: D1010006 0001E506
	v_add_f32_e64 v7, v7, 1.0                                  // 0000000094FC: D1010007 0001E507
	v_rcp_f32_e32 v4, v4                                       // 000000009504: 7E084504
	v_rcp_f32_e32 v5, v5                                       // 000000009508: 7E0A4505
	v_rcp_f32_e32 v6, v6                                       // 00000000950C: 7E0C4506
	v_rcp_f32_e32 v7, v7                                       // 000000009510: 7E0E4507
	v_mul_f32_e32 v84, v84, v4                                 // 000000009514: 0AA80954
	v_mul_f32_e32 v85, v85, v5                                 // 000000009518: 0AAA0B55
	v_mul_f32_e32 v86, v86, v6                                 // 00000000951C: 0AAC0D56
	v_mul_f32_e32 v87, v87, v7                                 // 000000009520: 0AAE0F57
	v_mul_f32_e32 v84, v84, v112                               // 000000009524: 0AA8E154
	v_mul_f32_e32 v85, v85, v113                               // 000000009528: 0AAAE355
	v_mul_f32_e32 v86, v86, v114                               // 00000000952C: 0AACE556
	v_mul_f32_e32 v87, v87, v115                               // 000000009530: 0AAEE757
	v_pk_mul_f32 v[4:5], v[88:89], v[88:89]                    // 000000009534: D3B14004 1802B158
	v_pk_mul_f32 v[6:7], v[90:91], v[90:91]                    // 00000000953C: D3B14006 1802B55A
	v_pk_fma_f32 v[4:5], v[4:5], s[78:79], v[8:9]              // 000000009544: D3B04004 1C209D04
	v_pk_fma_f32 v[6:7], v[6:7], s[78:79], v[8:9]              // 00000000954C: D3B04006 1C209D06
	v_pk_mul_f32 v[4:5], v[4:5], v[88:89]                      // 000000009554: D3B14004 1802B104
	v_pk_mul_f32 v[6:7], v[6:7], v[90:91]                      // 00000000955C: D3B14006 1802B506
	v_pk_mul_f32 v[4:5], v[4:5], s[60:61]                      // 000000009564: D3B14004 18007904
	v_pk_mul_f32 v[6:7], v[6:7], s[60:61]                      // 00000000956C: D3B14006 18007906
	v_exp_f32_e32 v4, v4                                       // 000000009574: 7E084104
	v_exp_f32_e32 v5, v5                                       // 000000009578: 7E0A4105
	v_exp_f32_e32 v6, v6                                       // 00000000957C: 7E0C4106
	v_exp_f32_e32 v7, v7                                       // 000000009580: 7E0E4107
	v_add_f32_e64 v4, v4, 1.0                                  // 000000009584: D1010004 0001E504
	v_add_f32_e64 v5, v5, 1.0                                  // 00000000958C: D1010005 0001E505
	v_add_f32_e64 v6, v6, 1.0                                  // 000000009594: D1010006 0001E506
	v_add_f32_e64 v7, v7, 1.0                                  // 00000000959C: D1010007 0001E507
	v_rcp_f32_e32 v4, v4                                       // 0000000095A4: 7E084504
	v_rcp_f32_e32 v5, v5                                       // 0000000095A8: 7E0A4505
	v_rcp_f32_e32 v6, v6                                       // 0000000095AC: 7E0C4506
	v_rcp_f32_e32 v7, v7                                       // 0000000095B0: 7E0E4507
	v_mul_f32_e32 v88, v88, v4                                 // 0000000095B4: 0AB00958
	v_mul_f32_e32 v89, v89, v5                                 // 0000000095B8: 0AB20B59
	v_mul_f32_e32 v90, v90, v6                                 // 0000000095BC: 0AB40D5A
	v_mul_f32_e32 v91, v91, v7                                 // 0000000095C0: 0AB60F5B
	v_mul_f32_e32 v88, v88, v116                               // 0000000095C4: 0AB0E958
	v_mul_f32_e32 v89, v89, v117                               // 0000000095C8: 0AB2EB59
	v_mul_f32_e32 v90, v90, v118                               // 0000000095CC: 0AB4ED5A
	v_mul_f32_e32 v91, v91, v119                               // 0000000095D0: 0AB6EF5B
	v_pk_mul_f32 v[4:5], v[92:93], v[92:93]                    // 0000000095D4: D3B14004 1802B95C
	v_pk_mul_f32 v[6:7], v[94:95], v[94:95]                    // 0000000095DC: D3B14006 1802BD5E
	v_pk_fma_f32 v[4:5], v[4:5], s[78:79], v[8:9]              // 0000000095E4: D3B04004 1C209D04
	v_pk_fma_f32 v[6:7], v[6:7], s[78:79], v[8:9]              // 0000000095EC: D3B04006 1C209D06
	v_pk_mul_f32 v[4:5], v[4:5], v[92:93]                      // 0000000095F4: D3B14004 1802B904
	v_pk_mul_f32 v[6:7], v[6:7], v[94:95]                      // 0000000095FC: D3B14006 1802BD06
	v_pk_mul_f32 v[4:5], v[4:5], s[60:61]                      // 000000009604: D3B14004 18007904
	v_pk_mul_f32 v[6:7], v[6:7], s[60:61]                      // 00000000960C: D3B14006 18007906
	v_exp_f32_e32 v4, v4                                       // 000000009614: 7E084104
	v_exp_f32_e32 v5, v5                                       // 000000009618: 7E0A4105
	v_exp_f32_e32 v6, v6                                       // 00000000961C: 7E0C4106
	v_exp_f32_e32 v7, v7                                       // 000000009620: 7E0E4107
	v_add_f32_e64 v4, v4, 1.0                                  // 000000009624: D1010004 0001E504
	v_add_f32_e64 v5, v5, 1.0                                  // 00000000962C: D1010005 0001E505
	v_add_f32_e64 v6, v6, 1.0                                  // 000000009634: D1010006 0001E506
	v_add_f32_e64 v7, v7, 1.0                                  // 00000000963C: D1010007 0001E507
	v_rcp_f32_e32 v4, v4                                       // 000000009644: 7E084504
	v_rcp_f32_e32 v5, v5                                       // 000000009648: 7E0A4505
	v_rcp_f32_e32 v6, v6                                       // 00000000964C: 7E0C4506
	v_rcp_f32_e32 v7, v7                                       // 000000009650: 7E0E4507
	v_mul_f32_e32 v92, v92, v4                                 // 000000009654: 0AB8095C
	v_mul_f32_e32 v93, v93, v5                                 // 000000009658: 0ABA0B5D
	v_mul_f32_e32 v94, v94, v6                                 // 00000000965C: 0ABC0D5E
	v_mul_f32_e32 v95, v95, v7                                 // 000000009660: 0ABE0F5F
	v_mul_f32_e32 v92, v92, v120                               // 000000009664: 0AB8F15C
	v_mul_f32_e32 v93, v93, v121                               // 000000009668: 0ABAF35D
	v_mul_f32_e32 v94, v94, v122                               // 00000000966C: 0ABCF55E
	v_mul_f32_e32 v95, v95, v123                               // 000000009670: 0ABEF75F
	v_pk_mul_f32 v[4:5], v[96:97], v[96:97]                    // 000000009674: D3B14004 1802C160
	v_pk_mul_f32 v[6:7], v[98:99], v[98:99]                    // 00000000967C: D3B14006 1802C562
	v_pk_fma_f32 v[4:5], v[4:5], s[78:79], v[8:9]              // 000000009684: D3B04004 1C209D04
	v_pk_fma_f32 v[6:7], v[6:7], s[78:79], v[8:9]              // 00000000968C: D3B04006 1C209D06
	v_pk_mul_f32 v[4:5], v[4:5], v[96:97]                      // 000000009694: D3B14004 1802C104
	v_pk_mul_f32 v[6:7], v[6:7], v[98:99]                      // 00000000969C: D3B14006 1802C506
	v_pk_mul_f32 v[4:5], v[4:5], s[60:61]                      // 0000000096A4: D3B14004 18007904
	v_pk_mul_f32 v[6:7], v[6:7], s[60:61]                      // 0000000096AC: D3B14006 18007906
	v_exp_f32_e32 v4, v4                                       // 0000000096B4: 7E084104
	v_exp_f32_e32 v5, v5                                       // 0000000096B8: 7E0A4105
	v_exp_f32_e32 v6, v6                                       // 0000000096BC: 7E0C4106
	v_exp_f32_e32 v7, v7                                       // 0000000096C0: 7E0E4107
	v_add_f32_e64 v4, v4, 1.0                                  // 0000000096C4: D1010004 0001E504
	v_add_f32_e64 v5, v5, 1.0                                  // 0000000096CC: D1010005 0001E505
	v_add_f32_e64 v6, v6, 1.0                                  // 0000000096D4: D1010006 0001E506
	v_add_f32_e64 v7, v7, 1.0                                  // 0000000096DC: D1010007 0001E507
	v_rcp_f32_e32 v4, v4                                       // 0000000096E4: 7E084504
	v_rcp_f32_e32 v5, v5                                       // 0000000096E8: 7E0A4505
	v_rcp_f32_e32 v6, v6                                       // 0000000096EC: 7E0C4506
	v_rcp_f32_e32 v7, v7                                       // 0000000096F0: 7E0E4507
	v_mul_f32_e32 v96, v96, v4                                 // 0000000096F4: 0AC00960
	v_mul_f32_e32 v97, v97, v5                                 // 0000000096F8: 0AC20B61
	v_mul_f32_e32 v98, v98, v6                                 // 0000000096FC: 0AC40D62
	v_mul_f32_e32 v99, v99, v7                                 // 000000009700: 0AC60F63
	v_mul_f32_e32 v96, v96, v124                               // 000000009704: 0AC0F960
	v_mul_f32_e32 v97, v97, v125                               // 000000009708: 0AC2FB61
	v_mul_f32_e32 v98, v98, v126                               // 00000000970C: 0AC4FD62
	v_mul_f32_e32 v99, v99, v127                               // 000000009710: 0AC6FF63
	v_pk_mul_f32 v[4:5], v[100:101], v[100:101]                // 000000009714: D3B14004 1802C964
	v_pk_mul_f32 v[6:7], v[102:103], v[102:103]                // 00000000971C: D3B14006 1802CD66
	v_pk_fma_f32 v[4:5], v[4:5], s[78:79], v[8:9]              // 000000009724: D3B04004 1C209D04
	v_pk_fma_f32 v[6:7], v[6:7], s[78:79], v[8:9]              // 00000000972C: D3B04006 1C209D06
	v_pk_mul_f32 v[4:5], v[4:5], v[100:101]                    // 000000009734: D3B14004 1802C904
	v_pk_mul_f32 v[6:7], v[6:7], v[102:103]                    // 00000000973C: D3B14006 1802CD06
	v_pk_mul_f32 v[4:5], v[4:5], s[60:61]                      // 000000009744: D3B14004 18007904
	v_pk_mul_f32 v[6:7], v[6:7], s[60:61]                      // 00000000974C: D3B14006 18007906
	v_exp_f32_e32 v4, v4                                       // 000000009754: 7E084104
	v_exp_f32_e32 v5, v5                                       // 000000009758: 7E0A4105
	v_exp_f32_e32 v6, v6                                       // 00000000975C: 7E0C4106
	v_exp_f32_e32 v7, v7                                       // 000000009760: 7E0E4107
	v_add_f32_e64 v4, v4, 1.0                                  // 000000009764: D1010004 0001E504
	v_add_f32_e64 v5, v5, 1.0                                  // 00000000976C: D1010005 0001E505
	v_add_f32_e64 v6, v6, 1.0                                  // 000000009774: D1010006 0001E506
	v_add_f32_e64 v7, v7, 1.0                                  // 00000000977C: D1010007 0001E507
	v_rcp_f32_e32 v4, v4                                       // 000000009784: 7E084504
	v_rcp_f32_e32 v5, v5                                       // 000000009788: 7E0A4505
	v_rcp_f32_e32 v6, v6                                       // 00000000978C: 7E0C4506
	v_rcp_f32_e32 v7, v7                                       // 000000009790: 7E0E4507
	v_mul_f32_e32 v100, v100, v4                               // 000000009794: 0AC80964
	v_mul_f32_e32 v101, v101, v5                               // 000000009798: 0ACA0B65
	v_mul_f32_e32 v102, v102, v6                               // 00000000979C: 0ACC0D66
	v_mul_f32_e32 v103, v103, v7                               // 0000000097A0: 0ACE0F67
	v_mul_f32_e32 v100, v100, v128                             // 0000000097A4: 0AC90164
	v_mul_f32_e32 v101, v101, v129                             // 0000000097A8: 0ACB0365
	v_mul_f32_e32 v102, v102, v130                             // 0000000097AC: 0ACD0566
	v_mul_f32_e32 v103, v103, v131                             // 0000000097B0: 0ACF0767
	s_branch label_1C51                                        // 0000000097B4: BF8200E0

00000000000097b8 <label_1B71>:
	v_mul_f32_e64 v4, -v76, s6                                 // 0000000097B8: D1050004 20000D4C
	v_mul_f32_e64 v5, -v77, s6                                 // 0000000097C0: D1050005 20000D4D
	v_mul_f32_e64 v6, -v78, s6                                 // 0000000097C8: D1050006 20000D4E
	v_mul_f32_e64 v7, -v79, s6                                 // 0000000097D0: D1050007 20000D4F
	v_exp_f32_e32 v4, v4                                       // 0000000097D8: 7E084104
	v_exp_f32_e32 v5, v5                                       // 0000000097DC: 7E0A4105
	v_exp_f32_e32 v6, v6                                       // 0000000097E0: 7E0C4106
	v_exp_f32_e32 v7, v7                                       // 0000000097E4: 7E0E4107
	v_add_f32_e64 v4, v4, 1.0                                  // 0000000097E8: D1010004 0001E504
	v_add_f32_e64 v5, v5, 1.0                                  // 0000000097F0: D1010005 0001E505
	v_add_f32_e64 v6, v6, 1.0                                  // 0000000097F8: D1010006 0001E506
	v_add_f32_e64 v7, v7, 1.0                                  // 000000009800: D1010007 0001E507
	v_rcp_f32_e32 v4, v4                                       // 000000009808: 7E084504
	v_rcp_f32_e32 v5, v5                                       // 00000000980C: 7E0A4505
	v_rcp_f32_e32 v6, v6                                       // 000000009810: 7E0C4506
	v_rcp_f32_e32 v7, v7                                       // 000000009814: 7E0E4507
	v_mul_f32_e32 v76, v76, v4                                 // 000000009818: 0A98094C
	v_mul_f32_e32 v77, v77, v5                                 // 00000000981C: 0A9A0B4D
	v_mul_f32_e32 v78, v78, v6                                 // 000000009820: 0A9C0D4E
	v_mul_f32_e32 v79, v79, v7                                 // 000000009824: 0A9E0F4F
	v_mul_f32_e32 v76, v76, v104                               // 000000009828: 0A98D14C
	v_mul_f32_e32 v77, v77, v105                               // 00000000982C: 0A9AD34D
	v_mul_f32_e32 v78, v78, v106                               // 000000009830: 0A9CD54E
	v_mul_f32_e32 v79, v79, v107                               // 000000009834: 0A9ED74F
	v_mul_f32_e64 v4, -v80, s6                                 // 000000009838: D1050004 20000D50
	v_mul_f32_e64 v5, -v81, s6                                 // 000000009840: D1050005 20000D51
	v_mul_f32_e64 v6, -v82, s6                                 // 000000009848: D1050006 20000D52
	v_mul_f32_e64 v7, -v83, s6                                 // 000000009850: D1050007 20000D53
	v_exp_f32_e32 v4, v4                                       // 000000009858: 7E084104
	v_exp_f32_e32 v5, v5                                       // 00000000985C: 7E0A4105
	v_exp_f32_e32 v6, v6                                       // 000000009860: 7E0C4106
	v_exp_f32_e32 v7, v7                                       // 000000009864: 7E0E4107
	v_add_f32_e64 v4, v4, 1.0                                  // 000000009868: D1010004 0001E504
	v_add_f32_e64 v5, v5, 1.0                                  // 000000009870: D1010005 0001E505
	v_add_f32_e64 v6, v6, 1.0                                  // 000000009878: D1010006 0001E506
	v_add_f32_e64 v7, v7, 1.0                                  // 000000009880: D1010007 0001E507
	v_rcp_f32_e32 v4, v4                                       // 000000009888: 7E084504
	v_rcp_f32_e32 v5, v5                                       // 00000000988C: 7E0A4505
	v_rcp_f32_e32 v6, v6                                       // 000000009890: 7E0C4506
	v_rcp_f32_e32 v7, v7                                       // 000000009894: 7E0E4507
	v_mul_f32_e32 v80, v80, v4                                 // 000000009898: 0AA00950
	v_mul_f32_e32 v81, v81, v5                                 // 00000000989C: 0AA20B51
	v_mul_f32_e32 v82, v82, v6                                 // 0000000098A0: 0AA40D52
	v_mul_f32_e32 v83, v83, v7                                 // 0000000098A4: 0AA60F53
	v_mul_f32_e32 v80, v80, v108                               // 0000000098A8: 0AA0D950
	v_mul_f32_e32 v81, v81, v109                               // 0000000098AC: 0AA2DB51
	v_mul_f32_e32 v82, v82, v110                               // 0000000098B0: 0AA4DD52
	v_mul_f32_e32 v83, v83, v111                               // 0000000098B4: 0AA6DF53
	v_mul_f32_e64 v4, -v84, s6                                 // 0000000098B8: D1050004 20000D54
	v_mul_f32_e64 v5, -v85, s6                                 // 0000000098C0: D1050005 20000D55
	v_mul_f32_e64 v6, -v86, s6                                 // 0000000098C8: D1050006 20000D56
	v_mul_f32_e64 v7, -v87, s6                                 // 0000000098D0: D1050007 20000D57
	v_exp_f32_e32 v4, v4                                       // 0000000098D8: 7E084104
	v_exp_f32_e32 v5, v5                                       // 0000000098DC: 7E0A4105
	v_exp_f32_e32 v6, v6                                       // 0000000098E0: 7E0C4106
	v_exp_f32_e32 v7, v7                                       // 0000000098E4: 7E0E4107
	v_add_f32_e64 v4, v4, 1.0                                  // 0000000098E8: D1010004 0001E504
	v_add_f32_e64 v5, v5, 1.0                                  // 0000000098F0: D1010005 0001E505
	v_add_f32_e64 v6, v6, 1.0                                  // 0000000098F8: D1010006 0001E506
	v_add_f32_e64 v7, v7, 1.0                                  // 000000009900: D1010007 0001E507
	v_rcp_f32_e32 v4, v4                                       // 000000009908: 7E084504
	v_rcp_f32_e32 v5, v5                                       // 00000000990C: 7E0A4505
	v_rcp_f32_e32 v6, v6                                       // 000000009910: 7E0C4506
	v_rcp_f32_e32 v7, v7                                       // 000000009914: 7E0E4507
	v_mul_f32_e32 v84, v84, v4                                 // 000000009918: 0AA80954
	v_mul_f32_e32 v85, v85, v5                                 // 00000000991C: 0AAA0B55
	v_mul_f32_e32 v86, v86, v6                                 // 000000009920: 0AAC0D56
	v_mul_f32_e32 v87, v87, v7                                 // 000000009924: 0AAE0F57
	v_mul_f32_e32 v84, v84, v112                               // 000000009928: 0AA8E154
	v_mul_f32_e32 v85, v85, v113                               // 00000000992C: 0AAAE355
	v_mul_f32_e32 v86, v86, v114                               // 000000009930: 0AACE556
	v_mul_f32_e32 v87, v87, v115                               // 000000009934: 0AAEE757
	v_mul_f32_e64 v4, -v88, s6                                 // 000000009938: D1050004 20000D58
	v_mul_f32_e64 v5, -v89, s6                                 // 000000009940: D1050005 20000D59
	v_mul_f32_e64 v6, -v90, s6                                 // 000000009948: D1050006 20000D5A
	v_mul_f32_e64 v7, -v91, s6                                 // 000000009950: D1050007 20000D5B
	v_exp_f32_e32 v4, v4                                       // 000000009958: 7E084104
	v_exp_f32_e32 v5, v5                                       // 00000000995C: 7E0A4105
	v_exp_f32_e32 v6, v6                                       // 000000009960: 7E0C4106
	v_exp_f32_e32 v7, v7                                       // 000000009964: 7E0E4107
	v_add_f32_e64 v4, v4, 1.0                                  // 000000009968: D1010004 0001E504
	v_add_f32_e64 v5, v5, 1.0                                  // 000000009970: D1010005 0001E505
	v_add_f32_e64 v6, v6, 1.0                                  // 000000009978: D1010006 0001E506
	v_add_f32_e64 v7, v7, 1.0                                  // 000000009980: D1010007 0001E507
	v_rcp_f32_e32 v4, v4                                       // 000000009988: 7E084504
	v_rcp_f32_e32 v5, v5                                       // 00000000998C: 7E0A4505
	v_rcp_f32_e32 v6, v6                                       // 000000009990: 7E0C4506
	v_rcp_f32_e32 v7, v7                                       // 000000009994: 7E0E4507
	v_mul_f32_e32 v88, v88, v4                                 // 000000009998: 0AB00958
	v_mul_f32_e32 v89, v89, v5                                 // 00000000999C: 0AB20B59
	v_mul_f32_e32 v90, v90, v6                                 // 0000000099A0: 0AB40D5A
	v_mul_f32_e32 v91, v91, v7                                 // 0000000099A4: 0AB60F5B
	v_mul_f32_e32 v88, v88, v116                               // 0000000099A8: 0AB0E958
	v_mul_f32_e32 v89, v89, v117                               // 0000000099AC: 0AB2EB59
	v_mul_f32_e32 v90, v90, v118                               // 0000000099B0: 0AB4ED5A
	v_mul_f32_e32 v91, v91, v119                               // 0000000099B4: 0AB6EF5B
	v_mul_f32_e64 v4, -v92, s6                                 // 0000000099B8: D1050004 20000D5C
	v_mul_f32_e64 v5, -v93, s6                                 // 0000000099C0: D1050005 20000D5D
	v_mul_f32_e64 v6, -v94, s6                                 // 0000000099C8: D1050006 20000D5E
	v_mul_f32_e64 v7, -v95, s6                                 // 0000000099D0: D1050007 20000D5F
	v_exp_f32_e32 v4, v4                                       // 0000000099D8: 7E084104
	v_exp_f32_e32 v5, v5                                       // 0000000099DC: 7E0A4105
	v_exp_f32_e32 v6, v6                                       // 0000000099E0: 7E0C4106
	v_exp_f32_e32 v7, v7                                       // 0000000099E4: 7E0E4107
	v_add_f32_e64 v4, v4, 1.0                                  // 0000000099E8: D1010004 0001E504
	v_add_f32_e64 v5, v5, 1.0                                  // 0000000099F0: D1010005 0001E505
	v_add_f32_e64 v6, v6, 1.0                                  // 0000000099F8: D1010006 0001E506
	v_add_f32_e64 v7, v7, 1.0                                  // 000000009A00: D1010007 0001E507
	v_rcp_f32_e32 v4, v4                                       // 000000009A08: 7E084504
	v_rcp_f32_e32 v5, v5                                       // 000000009A0C: 7E0A4505
	v_rcp_f32_e32 v6, v6                                       // 000000009A10: 7E0C4506
	v_rcp_f32_e32 v7, v7                                       // 000000009A14: 7E0E4507
	v_mul_f32_e32 v92, v92, v4                                 // 000000009A18: 0AB8095C
	v_mul_f32_e32 v93, v93, v5                                 // 000000009A1C: 0ABA0B5D
	v_mul_f32_e32 v94, v94, v6                                 // 000000009A20: 0ABC0D5E
	v_mul_f32_e32 v95, v95, v7                                 // 000000009A24: 0ABE0F5F
	v_mul_f32_e32 v92, v92, v120                               // 000000009A28: 0AB8F15C
	v_mul_f32_e32 v93, v93, v121                               // 000000009A2C: 0ABAF35D
	v_mul_f32_e32 v94, v94, v122                               // 000000009A30: 0ABCF55E
	v_mul_f32_e32 v95, v95, v123                               // 000000009A34: 0ABEF75F
	v_mul_f32_e64 v4, -v96, s6                                 // 000000009A38: D1050004 20000D60
	v_mul_f32_e64 v5, -v97, s6                                 // 000000009A40: D1050005 20000D61
	v_mul_f32_e64 v6, -v98, s6                                 // 000000009A48: D1050006 20000D62
	v_mul_f32_e64 v7, -v99, s6                                 // 000000009A50: D1050007 20000D63
	v_exp_f32_e32 v4, v4                                       // 000000009A58: 7E084104
	v_exp_f32_e32 v5, v5                                       // 000000009A5C: 7E0A4105
	v_exp_f32_e32 v6, v6                                       // 000000009A60: 7E0C4106
	v_exp_f32_e32 v7, v7                                       // 000000009A64: 7E0E4107
	v_add_f32_e64 v4, v4, 1.0                                  // 000000009A68: D1010004 0001E504
	v_add_f32_e64 v5, v5, 1.0                                  // 000000009A70: D1010005 0001E505
	v_add_f32_e64 v6, v6, 1.0                                  // 000000009A78: D1010006 0001E506
	v_add_f32_e64 v7, v7, 1.0                                  // 000000009A80: D1010007 0001E507
	v_rcp_f32_e32 v4, v4                                       // 000000009A88: 7E084504
	v_rcp_f32_e32 v5, v5                                       // 000000009A8C: 7E0A4505
	v_rcp_f32_e32 v6, v6                                       // 000000009A90: 7E0C4506
	v_rcp_f32_e32 v7, v7                                       // 000000009A94: 7E0E4507
	v_mul_f32_e32 v96, v96, v4                                 // 000000009A98: 0AC00960
	v_mul_f32_e32 v97, v97, v5                                 // 000000009A9C: 0AC20B61
	v_mul_f32_e32 v98, v98, v6                                 // 000000009AA0: 0AC40D62
	v_mul_f32_e32 v99, v99, v7                                 // 000000009AA4: 0AC60F63
	v_mul_f32_e32 v96, v96, v124                               // 000000009AA8: 0AC0F960
	v_mul_f32_e32 v97, v97, v125                               // 000000009AAC: 0AC2FB61
	v_mul_f32_e32 v98, v98, v126                               // 000000009AB0: 0AC4FD62
	v_mul_f32_e32 v99, v99, v127                               // 000000009AB4: 0AC6FF63
	v_mul_f32_e64 v4, -v100, s6                                // 000000009AB8: D1050004 20000D64
	v_mul_f32_e64 v5, -v101, s6                                // 000000009AC0: D1050005 20000D65
	v_mul_f32_e64 v6, -v102, s6                                // 000000009AC8: D1050006 20000D66
	v_mul_f32_e64 v7, -v103, s6                                // 000000009AD0: D1050007 20000D67
	v_exp_f32_e32 v4, v4                                       // 000000009AD8: 7E084104
	v_exp_f32_e32 v5, v5                                       // 000000009ADC: 7E0A4105
	v_exp_f32_e32 v6, v6                                       // 000000009AE0: 7E0C4106
	v_exp_f32_e32 v7, v7                                       // 000000009AE4: 7E0E4107
	v_add_f32_e64 v4, v4, 1.0                                  // 000000009AE8: D1010004 0001E504
	v_add_f32_e64 v5, v5, 1.0                                  // 000000009AF0: D1010005 0001E505
	v_add_f32_e64 v6, v6, 1.0                                  // 000000009AF8: D1010006 0001E506
	v_add_f32_e64 v7, v7, 1.0                                  // 000000009B00: D1010007 0001E507
	v_rcp_f32_e32 v4, v4                                       // 000000009B08: 7E084504
	v_rcp_f32_e32 v5, v5                                       // 000000009B0C: 7E0A4505
	v_rcp_f32_e32 v6, v6                                       // 000000009B10: 7E0C4506
	v_rcp_f32_e32 v7, v7                                       // 000000009B14: 7E0E4507
	v_mul_f32_e32 v100, v100, v4                               // 000000009B18: 0AC80964
	v_mul_f32_e32 v101, v101, v5                               // 000000009B1C: 0ACA0B65
	v_mul_f32_e32 v102, v102, v6                               // 000000009B20: 0ACC0D66
	v_mul_f32_e32 v103, v103, v7                               // 000000009B24: 0ACE0F67
	v_mul_f32_e32 v100, v100, v128                             // 000000009B28: 0AC90164
	v_mul_f32_e32 v101, v101, v129                             // 000000009B2C: 0ACB0365
	v_mul_f32_e32 v102, v102, v130                             // 000000009B30: 0ACD0566
	v_mul_f32_e32 v103, v103, v131                             // 000000009B34: 0ACF0767

0000000000009b38 <label_1C51>:
	v_cmp_u_f32_e64 s[46:47], v76, v76                         // 000000009B38: D048002E 0002994C
	v_add3_u32 v16, v76, v19, 1                                // 000000009B40: D1FF0010 0206274C
	v_cndmask_b32_e64 v4, v16, v18, s[46:47]                   // 000000009B48: D1000004 00BA2510
	v_cmp_u_f32_e64 s[46:47], v77, v77                         // 000000009B50: D048002E 00029B4D
	v_add3_u32 v16, v77, v19, 1                                // 000000009B58: D1FF0010 0206274D
	v_cndmask_b32_e64 v5, v16, v18, s[46:47]                   // 000000009B60: D1000005 00BA2510
	v_perm_b32 v76, v5, v4, s52                                // 000000009B68: D1ED004C 00D20905
	v_cmp_u_f32_e64 s[46:47], v78, v78                         // 000000009B70: D048002E 00029D4E
	v_add3_u32 v16, v78, v19, 1                                // 000000009B78: D1FF0010 0206274E
	v_cndmask_b32_e64 v4, v16, v18, s[46:47]                   // 000000009B80: D1000004 00BA2510
	v_cmp_u_f32_e64 s[46:47], v79, v79                         // 000000009B88: D048002E 00029F4F
	v_add3_u32 v16, v79, v19, 1                                // 000000009B90: D1FF0010 0206274F
	v_cndmask_b32_e64 v5, v16, v18, s[46:47]                   // 000000009B98: D1000005 00BA2510
	v_perm_b32 v77, v5, v4, s52                                // 000000009BA0: D1ED004D 00D20905
	v_cmp_u_f32_e64 s[46:47], v80, v80                         // 000000009BA8: D048002E 0002A150
	v_add3_u32 v16, v80, v19, 1                                // 000000009BB0: D1FF0010 02062750
	v_cndmask_b32_e64 v4, v16, v18, s[46:47]                   // 000000009BB8: D1000004 00BA2510
	v_cmp_u_f32_e64 s[46:47], v81, v81                         // 000000009BC0: D048002E 0002A351
	v_add3_u32 v16, v81, v19, 1                                // 000000009BC8: D1FF0010 02062751
	v_cndmask_b32_e64 v5, v16, v18, s[46:47]                   // 000000009BD0: D1000005 00BA2510
	v_perm_b32 v78, v5, v4, s52                                // 000000009BD8: D1ED004E 00D20905
	v_cmp_u_f32_e64 s[46:47], v82, v82                         // 000000009BE0: D048002E 0002A552
	v_add3_u32 v16, v82, v19, 1                                // 000000009BE8: D1FF0010 02062752
	v_cndmask_b32_e64 v4, v16, v18, s[46:47]                   // 000000009BF0: D1000004 00BA2510
	v_cmp_u_f32_e64 s[46:47], v83, v83                         // 000000009BF8: D048002E 0002A753
	v_add3_u32 v16, v83, v19, 1                                // 000000009C00: D1FF0010 02062753
	v_cndmask_b32_e64 v5, v16, v18, s[46:47]                   // 000000009C08: D1000005 00BA2510
	v_perm_b32 v79, v5, v4, s52                                // 000000009C10: D1ED004F 00D20905
	v_cmp_u_f32_e64 s[46:47], v84, v84                         // 000000009C18: D048002E 0002A954
	v_add3_u32 v16, v84, v19, 1                                // 000000009C20: D1FF0010 02062754
	v_cndmask_b32_e64 v4, v16, v18, s[46:47]                   // 000000009C28: D1000004 00BA2510
	v_cmp_u_f32_e64 s[46:47], v85, v85                         // 000000009C30: D048002E 0002AB55
	v_add3_u32 v16, v85, v19, 1                                // 000000009C38: D1FF0010 02062755
	v_cndmask_b32_e64 v5, v16, v18, s[46:47]                   // 000000009C40: D1000005 00BA2510
	v_perm_b32 v80, v5, v4, s52                                // 000000009C48: D1ED0050 00D20905
	v_cmp_u_f32_e64 s[46:47], v86, v86                         // 000000009C50: D048002E 0002AD56
	v_add3_u32 v16, v86, v19, 1                                // 000000009C58: D1FF0010 02062756
	v_cndmask_b32_e64 v4, v16, v18, s[46:47]                   // 000000009C60: D1000004 00BA2510
	v_cmp_u_f32_e64 s[46:47], v87, v87                         // 000000009C68: D048002E 0002AF57
	v_add3_u32 v16, v87, v19, 1                                // 000000009C70: D1FF0010 02062757
	v_cndmask_b32_e64 v5, v16, v18, s[46:47]                   // 000000009C78: D1000005 00BA2510
	v_perm_b32 v81, v5, v4, s52                                // 000000009C80: D1ED0051 00D20905
	v_cmp_u_f32_e64 s[46:47], v88, v88                         // 000000009C88: D048002E 0002B158
	v_add3_u32 v16, v88, v19, 1                                // 000000009C90: D1FF0010 02062758
	v_cndmask_b32_e64 v4, v16, v18, s[46:47]                   // 000000009C98: D1000004 00BA2510
	v_cmp_u_f32_e64 s[46:47], v89, v89                         // 000000009CA0: D048002E 0002B359
	v_add3_u32 v16, v89, v19, 1                                // 000000009CA8: D1FF0010 02062759
	v_cndmask_b32_e64 v5, v16, v18, s[46:47]                   // 000000009CB0: D1000005 00BA2510
	v_perm_b32 v82, v5, v4, s52                                // 000000009CB8: D1ED0052 00D20905
	v_cmp_u_f32_e64 s[46:47], v90, v90                         // 000000009CC0: D048002E 0002B55A
	v_add3_u32 v16, v90, v19, 1                                // 000000009CC8: D1FF0010 0206275A
	v_cndmask_b32_e64 v4, v16, v18, s[46:47]                   // 000000009CD0: D1000004 00BA2510
	v_cmp_u_f32_e64 s[46:47], v91, v91                         // 000000009CD8: D048002E 0002B75B
	v_add3_u32 v16, v91, v19, 1                                // 000000009CE0: D1FF0010 0206275B
	v_cndmask_b32_e64 v5, v16, v18, s[46:47]                   // 000000009CE8: D1000005 00BA2510
	v_perm_b32 v83, v5, v4, s52                                // 000000009CF0: D1ED0053 00D20905
	v_cmp_u_f32_e64 s[46:47], v92, v92                         // 000000009CF8: D048002E 0002B95C
	v_add3_u32 v16, v92, v19, 1                                // 000000009D00: D1FF0010 0206275C
	v_cndmask_b32_e64 v4, v16, v18, s[46:47]                   // 000000009D08: D1000004 00BA2510
	v_cmp_u_f32_e64 s[46:47], v93, v93                         // 000000009D10: D048002E 0002BB5D
	v_add3_u32 v16, v93, v19, 1                                // 000000009D18: D1FF0010 0206275D
	v_cndmask_b32_e64 v5, v16, v18, s[46:47]                   // 000000009D20: D1000005 00BA2510
	v_perm_b32 v84, v5, v4, s52                                // 000000009D28: D1ED0054 00D20905
	v_cmp_u_f32_e64 s[46:47], v94, v94                         // 000000009D30: D048002E 0002BD5E
	v_add3_u32 v16, v94, v19, 1                                // 000000009D38: D1FF0010 0206275E
	v_cndmask_b32_e64 v4, v16, v18, s[46:47]                   // 000000009D40: D1000004 00BA2510
	v_cmp_u_f32_e64 s[46:47], v95, v95                         // 000000009D48: D048002E 0002BF5F
	v_add3_u32 v16, v95, v19, 1                                // 000000009D50: D1FF0010 0206275F
	v_cndmask_b32_e64 v5, v16, v18, s[46:47]                   // 000000009D58: D1000005 00BA2510
	v_perm_b32 v85, v5, v4, s52                                // 000000009D60: D1ED0055 00D20905
	v_cmp_u_f32_e64 s[46:47], v96, v96                         // 000000009D68: D048002E 0002C160
	v_add3_u32 v16, v96, v19, 1                                // 000000009D70: D1FF0010 02062760
	v_cndmask_b32_e64 v4, v16, v18, s[46:47]                   // 000000009D78: D1000004 00BA2510
	v_cmp_u_f32_e64 s[46:47], v97, v97                         // 000000009D80: D048002E 0002C361
	v_add3_u32 v16, v97, v19, 1                                // 000000009D88: D1FF0010 02062761
	v_cndmask_b32_e64 v5, v16, v18, s[46:47]                   // 000000009D90: D1000005 00BA2510
	v_perm_b32 v86, v5, v4, s52                                // 000000009D98: D1ED0056 00D20905
	v_cmp_u_f32_e64 s[46:47], v98, v98                         // 000000009DA0: D048002E 0002C562
	v_add3_u32 v16, v98, v19, 1                                // 000000009DA8: D1FF0010 02062762
	v_cndmask_b32_e64 v4, v16, v18, s[46:47]                   // 000000009DB0: D1000004 00BA2510
	v_cmp_u_f32_e64 s[46:47], v99, v99                         // 000000009DB8: D048002E 0002C763
	v_add3_u32 v16, v99, v19, 1                                // 000000009DC0: D1FF0010 02062763
	v_cndmask_b32_e64 v5, v16, v18, s[46:47]                   // 000000009DC8: D1000005 00BA2510
	v_perm_b32 v87, v5, v4, s52                                // 000000009DD0: D1ED0057 00D20905
	v_cmp_u_f32_e64 s[46:47], v100, v100                       // 000000009DD8: D048002E 0002C964
	v_add3_u32 v16, v100, v19, 1                               // 000000009DE0: D1FF0010 02062764
	v_cndmask_b32_e64 v4, v16, v18, s[46:47]                   // 000000009DE8: D1000004 00BA2510
	v_cmp_u_f32_e64 s[46:47], v101, v101                       // 000000009DF0: D048002E 0002CB65
	v_add3_u32 v16, v101, v19, 1                               // 000000009DF8: D1FF0010 02062765
	v_cndmask_b32_e64 v5, v16, v18, s[46:47]                   // 000000009E00: D1000005 00BA2510
	v_perm_b32 v88, v5, v4, s52                                // 000000009E08: D1ED0058 00D20905
	v_cmp_u_f32_e64 s[46:47], v102, v102                       // 000000009E10: D048002E 0002CD66
	v_add3_u32 v16, v102, v19, 1                               // 000000009E18: D1FF0010 02062766
	v_cndmask_b32_e64 v4, v16, v18, s[46:47]                   // 000000009E20: D1000004 00BA2510
	v_cmp_u_f32_e64 s[46:47], v103, v103                       // 000000009E28: D048002E 0002CF67
	v_add3_u32 v16, v103, v19, 1                               // 000000009E30: D1FF0010 02062767
	v_cndmask_b32_e64 v5, v16, v18, s[46:47]                   // 000000009E38: D1000005 00BA2510
	v_perm_b32 v89, v5, v4, s52                                // 000000009E40: D1ED0059 00D20905
	ds_write_b64 v20, v[76:77]                                 // 000000009E48: D89A0000 00004C14
	ds_write_b64 v20, v[78:79] offset:2176                     // 000000009E50: D89A0880 00004E14
	ds_write_b64 v20, v[80:81] offset:4352                     // 000000009E58: D89A1100 00005014
	ds_write_b64 v20, v[82:83] offset:6528                     // 000000009E60: D89A1980 00005214
	ds_write_b64 v20, v[84:85] offset:8704                     // 000000009E68: D89A2200 00005414
	ds_write_b64 v20, v[86:87] offset:10880                    // 000000009E70: D89A2A80 00005614
	ds_write_b64 v20, v[88:89] offset:13056                    // 000000009E78: D89A3300 00005814
	v_lshrrev_b32_e32 v4, 5, v0                                // 000000009E80: 20080085
	v_xor_b32_e32 v5, 1, v4                                    // 000000009E84: 2A0A0881
	s_mul_i32 s60, s65, 2                                      // 000000009E88: 923C8241
	s_cmp_eq_u32 s88, 0                                        // 000000009E8C: BF068058
	s_cselect_b32 s61, 1, 4                                    // 000000009E90: 853D8481
	s_mul_i32 s60, s61, s60                                    // 000000009E94: 923C3C3D
	v_readlane_b32 s82, v3, 0                                  // 000000009E98: D2890052 00010103
	s_lshr_b32 s61, s82, 24                                    // 000000009EA0: 8F3D9852
	s_and_b32 s82, s82, 0xffffff                               // 000000009EA4: 8652FF52 00FFFFFF
	s_mul_i32 s82, s82, s71                                    // 000000009EAC: 92524752
	s_mul_i32 s61, s60, s61                                    // 000000009EB0: 923D3D3C
	s_add_u32 s82, s82, s61                                    // 000000009EB4: 80523D52
	v_mul_lo_u32 v6, v5, s82                                   // 000000009EB8: D2850006 0000A505
	v_readlane_b32 s82, v3, 1                                  // 000000009EC0: D2890052 00010303
	s_lshr_b32 s61, s82, 24                                    // 000000009EC8: 8F3D9852
	s_and_b32 s82, s82, 0xffffff                               // 000000009ECC: 8652FF52 00FFFFFF
	s_mul_i32 s82, s82, s71                                    // 000000009ED4: 92524752
	s_mul_i32 s61, s60, s61                                    // 000000009ED8: 923D3D3C
	s_add_u32 s82, s82, s61                                    // 000000009EDC: 80523D52
	v_mul_lo_u32 v7, v4, s82                                   // 000000009EE0: D2850007 0000A504
	v_add_u32_e32 v58, v6, v7                                  // 000000009EE8: 68740F06
	v_readlane_b32 s82, v3, 2                                  // 000000009EEC: D2890052 00010503
	s_lshr_b32 s61, s82, 24                                    // 000000009EF4: 8F3D9852
	s_and_b32 s82, s82, 0xffffff                               // 000000009EF8: 8652FF52 00FFFFFF
	s_mul_i32 s82, s82, s71                                    // 000000009F00: 92524752
	s_mul_i32 s61, s60, s61                                    // 000000009F04: 923D3D3C
	s_add_u32 s82, s82, s61                                    // 000000009F08: 80523D52
	v_mul_lo_u32 v6, v5, s82                                   // 000000009F0C: D2850006 0000A505
	v_readlane_b32 s82, v3, 3                                  // 000000009F14: D2890052 00010703
	s_lshr_b32 s61, s82, 24                                    // 000000009F1C: 8F3D9852
	s_and_b32 s82, s82, 0xffffff                               // 000000009F20: 8652FF52 00FFFFFF
	s_mul_i32 s82, s82, s71                                    // 000000009F28: 92524752
	s_mul_i32 s61, s60, s61                                    // 000000009F2C: 923D3D3C
	s_add_u32 s82, s82, s61                                    // 000000009F30: 80523D52
	v_mul_lo_u32 v7, v4, s82                                   // 000000009F34: D2850007 0000A504
	v_add_u32_e32 v59, v6, v7                                  // 000000009F3C: 68760F06
	v_readlane_b32 s82, v3, 4                                  // 000000009F40: D2890052 00010903
	s_lshr_b32 s61, s82, 24                                    // 000000009F48: 8F3D9852
	s_and_b32 s82, s82, 0xffffff                               // 000000009F4C: 8652FF52 00FFFFFF
	s_mul_i32 s82, s82, s71                                    // 000000009F54: 92524752
	s_mul_i32 s61, s60, s61                                    // 000000009F58: 923D3D3C
	s_add_u32 s82, s82, s61                                    // 000000009F5C: 80523D52
	v_mul_lo_u32 v6, v5, s82                                   // 000000009F60: D2850006 0000A505
	v_readlane_b32 s82, v3, 5                                  // 000000009F68: D2890052 00010B03
	s_lshr_b32 s61, s82, 24                                    // 000000009F70: 8F3D9852
	s_and_b32 s82, s82, 0xffffff                               // 000000009F74: 8652FF52 00FFFFFF
	s_mul_i32 s82, s82, s71                                    // 000000009F7C: 92524752
	s_mul_i32 s61, s60, s61                                    // 000000009F80: 923D3D3C
	s_add_u32 s82, s82, s61                                    // 000000009F84: 80523D52
	v_mul_lo_u32 v7, v4, s82                                   // 000000009F88: D2850007 0000A504
	v_add_u32_e32 v60, v6, v7                                  // 000000009F90: 68780F06
	v_readlane_b32 s82, v3, 6                                  // 000000009F94: D2890052 00010D03
	s_lshr_b32 s61, s82, 24                                    // 000000009F9C: 8F3D9852
	s_and_b32 s82, s82, 0xffffff                               // 000000009FA0: 8652FF52 00FFFFFF
	s_mul_i32 s82, s82, s71                                    // 000000009FA8: 92524752
	s_mul_i32 s61, s60, s61                                    // 000000009FAC: 923D3D3C
	s_add_u32 s82, s82, s61                                    // 000000009FB0: 80523D52
	v_mul_lo_u32 v6, v5, s82                                   // 000000009FB4: D2850006 0000A505
	v_readlane_b32 s82, v3, 7                                  // 000000009FBC: D2890052 00010F03
	s_lshr_b32 s61, s82, 24                                    // 000000009FC4: 8F3D9852
	s_and_b32 s82, s82, 0xffffff                               // 000000009FC8: 8652FF52 00FFFFFF
	s_mul_i32 s82, s82, s71                                    // 000000009FD0: 92524752
	s_mul_i32 s61, s60, s61                                    // 000000009FD4: 923D3D3C
	s_add_u32 s82, s82, s61                                    // 000000009FD8: 80523D52
	v_mul_lo_u32 v7, v4, s82                                   // 000000009FDC: D2850007 0000A504
	v_add_u32_e32 v61, v6, v7                                  // 000000009FE4: 687A0F06
	v_readlane_b32 s82, v3, 8                                  // 000000009FE8: D2890052 00011103
	s_lshr_b32 s61, s82, 24                                    // 000000009FF0: 8F3D9852
	s_and_b32 s82, s82, 0xffffff                               // 000000009FF4: 8652FF52 00FFFFFF
	s_mul_i32 s82, s82, s71                                    // 000000009FFC: 92524752
	s_mul_i32 s61, s60, s61                                    // 00000000A000: 923D3D3C
	s_add_u32 s82, s82, s61                                    // 00000000A004: 80523D52
	v_mul_lo_u32 v6, v5, s82                                   // 00000000A008: D2850006 0000A505
	v_readlane_b32 s82, v3, 9                                  // 00000000A010: D2890052 00011303
	s_lshr_b32 s61, s82, 24                                    // 00000000A018: 8F3D9852
	s_and_b32 s82, s82, 0xffffff                               // 00000000A01C: 8652FF52 00FFFFFF
	s_mul_i32 s82, s82, s71                                    // 00000000A024: 92524752
	s_mul_i32 s61, s60, s61                                    // 00000000A028: 923D3D3C
	s_add_u32 s82, s82, s61                                    // 00000000A02C: 80523D52
	v_mul_lo_u32 v7, v4, s82                                   // 00000000A030: D2850007 0000A504
	v_add_u32_e32 v62, v6, v7                                  // 00000000A038: 687C0F06
	v_readlane_b32 s82, v3, 10                                 // 00000000A03C: D2890052 00011503
	s_lshr_b32 s61, s82, 24                                    // 00000000A044: 8F3D9852
	s_and_b32 s82, s82, 0xffffff                               // 00000000A048: 8652FF52 00FFFFFF
	s_mul_i32 s82, s82, s71                                    // 00000000A050: 92524752
	s_mul_i32 s61, s60, s61                                    // 00000000A054: 923D3D3C
	s_add_u32 s82, s82, s61                                    // 00000000A058: 80523D52
	v_mul_lo_u32 v6, v5, s82                                   // 00000000A05C: D2850006 0000A505
	v_readlane_b32 s82, v3, 11                                 // 00000000A064: D2890052 00011703
	s_lshr_b32 s61, s82, 24                                    // 00000000A06C: 8F3D9852
	s_and_b32 s82, s82, 0xffffff                               // 00000000A070: 8652FF52 00FFFFFF
	s_mul_i32 s82, s82, s71                                    // 00000000A078: 92524752
	s_mul_i32 s61, s60, s61                                    // 00000000A07C: 923D3D3C
	s_add_u32 s82, s82, s61                                    // 00000000A080: 80523D52
	v_mul_lo_u32 v7, v4, s82                                   // 00000000A084: D2850007 0000A504
	v_add_u32_e32 v63, v6, v7                                  // 00000000A08C: 687E0F06
	v_readlane_b32 s82, v3, 12                                 // 00000000A090: D2890052 00011903
	s_lshr_b32 s61, s82, 24                                    // 00000000A098: 8F3D9852
	s_and_b32 s82, s82, 0xffffff                               // 00000000A09C: 8652FF52 00FFFFFF
	s_mul_i32 s82, s82, s71                                    // 00000000A0A4: 92524752
	s_mul_i32 s61, s60, s61                                    // 00000000A0A8: 923D3D3C
	s_add_u32 s82, s82, s61                                    // 00000000A0AC: 80523D52
	v_mul_lo_u32 v6, v5, s82                                   // 00000000A0B0: D2850006 0000A505
	v_readlane_b32 s82, v3, 13                                 // 00000000A0B8: D2890052 00011B03
	s_lshr_b32 s61, s82, 24                                    // 00000000A0C0: 8F3D9852
	s_and_b32 s82, s82, 0xffffff                               // 00000000A0C4: 8652FF52 00FFFFFF
	s_mul_i32 s82, s82, s71                                    // 00000000A0CC: 92524752
	s_mul_i32 s61, s60, s61                                    // 00000000A0D0: 923D3D3C
	s_add_u32 s82, s82, s61                                    // 00000000A0D4: 80523D52
	v_mul_lo_u32 v7, v4, s82                                   // 00000000A0D8: D2850007 0000A504
	v_add_u32_e32 v64, v6, v7                                  // 00000000A0E0: 68800F06
	v_readlane_b32 s82, v3, 14                                 // 00000000A0E4: D2890052 00011D03
	s_lshr_b32 s61, s82, 24                                    // 00000000A0EC: 8F3D9852
	s_and_b32 s82, s82, 0xffffff                               // 00000000A0F0: 8652FF52 00FFFFFF
	s_mul_i32 s82, s82, s71                                    // 00000000A0F8: 92524752
	s_mul_i32 s61, s60, s61                                    // 00000000A0FC: 923D3D3C
	s_add_u32 s82, s82, s61                                    // 00000000A100: 80523D52
	v_mul_lo_u32 v6, v5, s82                                   // 00000000A104: D2850006 0000A505
	v_readlane_b32 s82, v3, 15                                 // 00000000A10C: D2890052 00011F03
	s_lshr_b32 s61, s82, 24                                    // 00000000A114: 8F3D9852
	s_and_b32 s82, s82, 0xffffff                               // 00000000A118: 8652FF52 00FFFFFF
	s_mul_i32 s82, s82, s71                                    // 00000000A120: 92524752
	s_mul_i32 s61, s60, s61                                    // 00000000A124: 923D3D3C
	s_add_u32 s82, s82, s61                                    // 00000000A128: 80523D52
	v_mul_lo_u32 v7, v4, s82                                   // 00000000A12C: D2850007 0000A504
	v_add_u32_e32 v65, v6, v7                                  // 00000000A134: 68820F06
	v_readlane_b32 s82, v3, 16                                 // 00000000A138: D2890052 00012103
	s_lshr_b32 s61, s82, 24                                    // 00000000A140: 8F3D9852
	s_and_b32 s82, s82, 0xffffff                               // 00000000A144: 8652FF52 00FFFFFF
	s_mul_i32 s82, s82, s71                                    // 00000000A14C: 92524752
	s_mul_i32 s61, s60, s61                                    // 00000000A150: 923D3D3C
	s_add_u32 s82, s82, s61                                    // 00000000A154: 80523D52
	v_mul_lo_u32 v6, v5, s82                                   // 00000000A158: D2850006 0000A505
	v_readlane_b32 s82, v3, 17                                 // 00000000A160: D2890052 00012303
	s_lshr_b32 s61, s82, 24                                    // 00000000A168: 8F3D9852
	s_and_b32 s82, s82, 0xffffff                               // 00000000A16C: 8652FF52 00FFFFFF
	s_mul_i32 s82, s82, s71                                    // 00000000A174: 92524752
	s_mul_i32 s61, s60, s61                                    // 00000000A178: 923D3D3C
	s_add_u32 s82, s82, s61                                    // 00000000A17C: 80523D52
	v_mul_lo_u32 v7, v4, s82                                   // 00000000A180: D2850007 0000A504
	v_add_u32_e32 v66, v6, v7                                  // 00000000A188: 68840F06
	v_readlane_b32 s82, v3, 18                                 // 00000000A18C: D2890052 00012503
	s_lshr_b32 s61, s82, 24                                    // 00000000A194: 8F3D9852
	s_and_b32 s82, s82, 0xffffff                               // 00000000A198: 8652FF52 00FFFFFF
	s_mul_i32 s82, s82, s71                                    // 00000000A1A0: 92524752
	s_mul_i32 s61, s60, s61                                    // 00000000A1A4: 923D3D3C
	s_add_u32 s82, s82, s61                                    // 00000000A1A8: 80523D52
	v_mul_lo_u32 v6, v5, s82                                   // 00000000A1AC: D2850006 0000A505
	v_readlane_b32 s82, v3, 19                                 // 00000000A1B4: D2890052 00012703
	s_lshr_b32 s61, s82, 24                                    // 00000000A1BC: 8F3D9852
	s_and_b32 s82, s82, 0xffffff                               // 00000000A1C0: 8652FF52 00FFFFFF
	s_mul_i32 s82, s82, s71                                    // 00000000A1C8: 92524752
	s_mul_i32 s61, s60, s61                                    // 00000000A1CC: 923D3D3C
	s_add_u32 s82, s82, s61                                    // 00000000A1D0: 80523D52
	v_mul_lo_u32 v7, v4, s82                                   // 00000000A1D4: D2850007 0000A504
	v_add_u32_e32 v67, v6, v7                                  // 00000000A1DC: 68860F06
	v_readlane_b32 s82, v3, 20                                 // 00000000A1E0: D2890052 00012903
	s_lshr_b32 s61, s82, 24                                    // 00000000A1E8: 8F3D9852
	s_and_b32 s82, s82, 0xffffff                               // 00000000A1EC: 8652FF52 00FFFFFF
	s_mul_i32 s82, s82, s71                                    // 00000000A1F4: 92524752
	s_mul_i32 s61, s60, s61                                    // 00000000A1F8: 923D3D3C
	s_add_u32 s82, s82, s61                                    // 00000000A1FC: 80523D52
	v_mul_lo_u32 v6, v5, s82                                   // 00000000A200: D2850006 0000A505
	v_readlane_b32 s82, v3, 21                                 // 00000000A208: D2890052 00012B03
	s_lshr_b32 s61, s82, 24                                    // 00000000A210: 8F3D9852
	s_and_b32 s82, s82, 0xffffff                               // 00000000A214: 8652FF52 00FFFFFF
	s_mul_i32 s82, s82, s71                                    // 00000000A21C: 92524752
	s_mul_i32 s61, s60, s61                                    // 00000000A220: 923D3D3C
	s_add_u32 s82, s82, s61                                    // 00000000A224: 80523D52
	v_mul_lo_u32 v7, v4, s82                                   // 00000000A228: D2850007 0000A504
	v_add_u32_e32 v68, v6, v7                                  // 00000000A230: 68880F06
	v_readlane_b32 s82, v3, 22                                 // 00000000A234: D2890052 00012D03
	s_lshr_b32 s61, s82, 24                                    // 00000000A23C: 8F3D9852
	s_and_b32 s82, s82, 0xffffff                               // 00000000A240: 8652FF52 00FFFFFF
	s_mul_i32 s82, s82, s71                                    // 00000000A248: 92524752
	s_mul_i32 s61, s60, s61                                    // 00000000A24C: 923D3D3C
	s_add_u32 s82, s82, s61                                    // 00000000A250: 80523D52
	v_mul_lo_u32 v6, v5, s82                                   // 00000000A254: D2850006 0000A505
	v_readlane_b32 s82, v3, 23                                 // 00000000A25C: D2890052 00012F03
	s_lshr_b32 s61, s82, 24                                    // 00000000A264: 8F3D9852
	s_and_b32 s82, s82, 0xffffff                               // 00000000A268: 8652FF52 00FFFFFF
	s_mul_i32 s82, s82, s71                                    // 00000000A270: 92524752
	s_mul_i32 s61, s60, s61                                    // 00000000A274: 923D3D3C
	s_add_u32 s82, s82, s61                                    // 00000000A278: 80523D52
	v_mul_lo_u32 v7, v4, s82                                   // 00000000A27C: D2850007 0000A504
	v_add_u32_e32 v69, v6, v7                                  // 00000000A284: 688A0F06
	v_readlane_b32 s82, v3, 24                                 // 00000000A288: D2890052 00013103
	s_lshr_b32 s61, s82, 24                                    // 00000000A290: 8F3D9852
	s_and_b32 s82, s82, 0xffffff                               // 00000000A294: 8652FF52 00FFFFFF
	s_mul_i32 s82, s82, s71                                    // 00000000A29C: 92524752
	s_mul_i32 s61, s60, s61                                    // 00000000A2A0: 923D3D3C
	s_add_u32 s82, s82, s61                                    // 00000000A2A4: 80523D52
	v_mul_lo_u32 v6, v5, s82                                   // 00000000A2A8: D2850006 0000A505
	v_readlane_b32 s82, v3, 25                                 // 00000000A2B0: D2890052 00013303
	s_lshr_b32 s61, s82, 24                                    // 00000000A2B8: 8F3D9852
	s_and_b32 s82, s82, 0xffffff                               // 00000000A2BC: 8652FF52 00FFFFFF
	s_mul_i32 s82, s82, s71                                    // 00000000A2C4: 92524752
	s_mul_i32 s61, s60, s61                                    // 00000000A2C8: 923D3D3C
	s_add_u32 s82, s82, s61                                    // 00000000A2CC: 80523D52
	v_mul_lo_u32 v7, v4, s82                                   // 00000000A2D0: D2850007 0000A504
	v_add_u32_e32 v70, v6, v7                                  // 00000000A2D8: 688C0F06
	v_readlane_b32 s82, v3, 26                                 // 00000000A2DC: D2890052 00013503
	s_lshr_b32 s61, s82, 24                                    // 00000000A2E4: 8F3D9852
	s_and_b32 s82, s82, 0xffffff                               // 00000000A2E8: 8652FF52 00FFFFFF
	s_mul_i32 s82, s82, s71                                    // 00000000A2F0: 92524752
	s_mul_i32 s61, s60, s61                                    // 00000000A2F4: 923D3D3C
	s_add_u32 s82, s82, s61                                    // 00000000A2F8: 80523D52
	v_mul_lo_u32 v6, v5, s82                                   // 00000000A2FC: D2850006 0000A505
	v_readlane_b32 s82, v3, 27                                 // 00000000A304: D2890052 00013703
	s_lshr_b32 s61, s82, 24                                    // 00000000A30C: 8F3D9852
	s_and_b32 s82, s82, 0xffffff                               // 00000000A310: 8652FF52 00FFFFFF
	s_mul_i32 s82, s82, s71                                    // 00000000A318: 92524752
	s_mul_i32 s61, s60, s61                                    // 00000000A31C: 923D3D3C
	s_add_u32 s82, s82, s61                                    // 00000000A320: 80523D52
	v_mul_lo_u32 v7, v4, s82                                   // 00000000A324: D2850007 0000A504
	v_add_u32_e32 v71, v6, v7                                  // 00000000A32C: 688E0F06
	v_and_b32_e32 v4, 31, v0                                   // 00000000A330: 2608009F
	v_lshrrev_b32_e32 v4, 1, v4                                // 00000000A334: 20080881
	s_cmp_eq_u32 s88, 0                                        // 00000000A338: BF068058
	s_cselect_b32 s61, 2, 4                                    // 00000000A33C: 853D8482
	v_mul_lo_u32 v4, v4, s61                                   // 00000000A340: D2850004 00007B04
	v_and_b32_e64 v5, v0, 1                                    // 00000000A348: D1130005 00010300
	v_add_u32_e32 v4, v4, v5                                   // 00000000A350: 68080B04
	v_lshlrev_b32_e32 v4, 2, v4                                // 00000000A354: 24080882
	v_add_u32_e32 v58, v58, v4                                 // 00000000A358: 6874093A
	v_add_u32_e32 v59, v59, v4                                 // 00000000A35C: 6876093B
	v_add_u32_e32 v60, v60, v4                                 // 00000000A360: 6878093C
	v_add_u32_e32 v61, v61, v4                                 // 00000000A364: 687A093D
	v_add_u32_e32 v62, v62, v4                                 // 00000000A368: 687C093E
	v_add_u32_e32 v63, v63, v4                                 // 00000000A36C: 687E093F
	v_add_u32_e32 v64, v64, v4                                 // 00000000A370: 68800940
	v_add_u32_e32 v65, v65, v4                                 // 00000000A374: 68820941
	v_add_u32_e32 v66, v66, v4                                 // 00000000A378: 68840942
	v_add_u32_e32 v67, v67, v4                                 // 00000000A37C: 68860943
	v_add_u32_e32 v68, v68, v4                                 // 00000000A380: 68880944
	v_add_u32_e32 v69, v69, v4                                 // 00000000A384: 688A0945
	v_add_u32_e32 v70, v70, v4                                 // 00000000A388: 688C0946
	v_add_u32_e32 v71, v71, v4                                 // 00000000A38C: 688E0947
	s_waitcnt lgkmcnt(0)                                       // 00000000A390: BF8CC07F
	s_barrier                                                  // 00000000A394: BF8A0000
	ds_read_b32 v76, v21                                       // 00000000A398: D86C0000 4C000015
	ds_read_b32 v77, v21 offset:64                             // 00000000A3A0: D86C0040 4D000015
	ds_read_b32 v78, v21 offset:2176                           // 00000000A3A8: D86C0880 4E000015
	ds_read_b32 v79, v21 offset:2240                           // 00000000A3B0: D86C08C0 4F000015
	ds_read_b32 v80, v21 offset:4352                           // 00000000A3B8: D86C1100 50000015
	ds_read_b32 v81, v21 offset:4416                           // 00000000A3C0: D86C1140 51000015
	ds_read_b32 v82, v21 offset:6528                           // 00000000A3C8: D86C1980 52000015
	ds_read_b32 v83, v21 offset:6592                           // 00000000A3D0: D86C19C0 53000015
	ds_read_b32 v84, v21 offset:8704                           // 00000000A3D8: D86C2200 54000015
	ds_read_b32 v85, v21 offset:8768                           // 00000000A3E0: D86C2240 55000015
	ds_read_b32 v86, v21 offset:10880                          // 00000000A3E8: D86C2A80 56000015
	ds_read_b32 v87, v21 offset:10944                          // 00000000A3F0: D86C2AC0 57000015
	ds_read_b32 v88, v21 offset:13056                          // 00000000A3F8: D86C3300 58000015
	ds_read_b32 v89, v21 offset:13120                          // 00000000A400: D86C3340 59000015
	s_waitcnt lgkmcnt(0)                                       // 00000000A408: BF8CC07F
	s_mov_b32 s36, -1                                          // 00000000A40C: BEA400C1
	s_mov_b32 s37, -1                                          // 00000000A410: BEA500C1
	v_mov_b32_e32 v7, 0                                        // 00000000A414: 7E0E0280
	s_or_b32 s9, s9, 0x40000                                   // 00000000A418: 8709FF09 00040000
	s_mov_b64 exec, s[36:37]                                   // 00000000A420: BEFE0124
	v_mov_b32_e32 v6, v58                                      // 00000000A424: 7E0C033A
	s_mov_b64 s[60:61], 0                                      // 00000000A428: BEBC0180
	v_readlane_b32 s82, v3, 0                                  // 00000000A42C: D2890052 00010103
	s_and_b32 s82, s82, 0xffffff                               // 00000000A434: 8652FF52 00FFFFFF
	s_cmp_lt_u32 s82, s66                                      // 00000000A43C: BF0A4252
	s_cselect_b32 s20, s36, s60                                // 00000000A440: 85143C24
	v_readlane_b32 s82, v3, 1                                  // 00000000A444: D2890052 00010303
	s_and_b32 s82, s82, 0xffffff                               // 00000000A44C: 8652FF52 00FFFFFF
	s_cmp_lt_u32 s82, s66                                      // 00000000A454: BF0A4252
	s_cselect_b32 s21, s36, s60                                // 00000000A458: 85153C24
	s_mov_b64 exec, s[20:21]                                   // 00000000A45C: BEFE0114
	buffer_store_dword v76, v6, s[8:11], 0 offen               // 00000000A460: E0701000 80024C06
	s_mov_b64 exec, s[36:37]                                   // 00000000A468: BEFE0124
	v_mov_b32_e32 v6, v59                                      // 00000000A46C: 7E0C033B
	s_mov_b64 s[60:61], 0                                      // 00000000A470: BEBC0180
	v_readlane_b32 s82, v3, 2                                  // 00000000A474: D2890052 00010503
	s_and_b32 s82, s82, 0xffffff                               // 00000000A47C: 8652FF52 00FFFFFF
	s_cmp_lt_u32 s82, s66                                      // 00000000A484: BF0A4252
	s_cselect_b32 s20, s36, s60                                // 00000000A488: 85143C24
	v_readlane_b32 s82, v3, 3                                  // 00000000A48C: D2890052 00010703
	s_and_b32 s82, s82, 0xffffff                               // 00000000A494: 8652FF52 00FFFFFF
	s_cmp_lt_u32 s82, s66                                      // 00000000A49C: BF0A4252
	s_cselect_b32 s21, s36, s60                                // 00000000A4A0: 85153C24
	s_mov_b64 exec, s[20:21]                                   // 00000000A4A4: BEFE0114
	buffer_store_dword v77, v6, s[8:11], 0 offen               // 00000000A4A8: E0701000 80024D06
	s_mov_b64 exec, s[36:37]                                   // 00000000A4B0: BEFE0124
	v_mov_b32_e32 v6, v60                                      // 00000000A4B4: 7E0C033C
	s_mov_b64 s[60:61], 0                                      // 00000000A4B8: BEBC0180
	v_readlane_b32 s82, v3, 4                                  // 00000000A4BC: D2890052 00010903
	s_and_b32 s82, s82, 0xffffff                               // 00000000A4C4: 8652FF52 00FFFFFF
	s_cmp_lt_u32 s82, s66                                      // 00000000A4CC: BF0A4252
	s_cselect_b32 s20, s36, s60                                // 00000000A4D0: 85143C24
	v_readlane_b32 s82, v3, 5                                  // 00000000A4D4: D2890052 00010B03
	s_and_b32 s82, s82, 0xffffff                               // 00000000A4DC: 8652FF52 00FFFFFF
	s_cmp_lt_u32 s82, s66                                      // 00000000A4E4: BF0A4252
	s_cselect_b32 s21, s36, s60                                // 00000000A4E8: 85153C24
	s_mov_b64 exec, s[20:21]                                   // 00000000A4EC: BEFE0114
	buffer_store_dword v78, v6, s[8:11], 0 offen               // 00000000A4F0: E0701000 80024E06
	s_mov_b64 exec, s[36:37]                                   // 00000000A4F8: BEFE0124
	v_mov_b32_e32 v6, v61                                      // 00000000A4FC: 7E0C033D
	s_mov_b64 s[60:61], 0                                      // 00000000A500: BEBC0180
	v_readlane_b32 s82, v3, 6                                  // 00000000A504: D2890052 00010D03
	s_and_b32 s82, s82, 0xffffff                               // 00000000A50C: 8652FF52 00FFFFFF
	s_cmp_lt_u32 s82, s66                                      // 00000000A514: BF0A4252
	s_cselect_b32 s20, s36, s60                                // 00000000A518: 85143C24
	v_readlane_b32 s82, v3, 7                                  // 00000000A51C: D2890052 00010F03
	s_and_b32 s82, s82, 0xffffff                               // 00000000A524: 8652FF52 00FFFFFF
	s_cmp_lt_u32 s82, s66                                      // 00000000A52C: BF0A4252
	s_cselect_b32 s21, s36, s60                                // 00000000A530: 85153C24
	s_mov_b64 exec, s[20:21]                                   // 00000000A534: BEFE0114
	buffer_store_dword v79, v6, s[8:11], 0 offen               // 00000000A538: E0701000 80024F06
	s_mov_b64 exec, s[36:37]                                   // 00000000A540: BEFE0124
	v_mov_b32_e32 v6, v62                                      // 00000000A544: 7E0C033E
	s_mov_b64 s[60:61], 0                                      // 00000000A548: BEBC0180
	v_readlane_b32 s82, v3, 8                                  // 00000000A54C: D2890052 00011103
	s_and_b32 s82, s82, 0xffffff                               // 00000000A554: 8652FF52 00FFFFFF
	s_cmp_lt_u32 s82, s66                                      // 00000000A55C: BF0A4252
	s_cselect_b32 s20, s36, s60                                // 00000000A560: 85143C24
	v_readlane_b32 s82, v3, 9                                  // 00000000A564: D2890052 00011303
	s_and_b32 s82, s82, 0xffffff                               // 00000000A56C: 8652FF52 00FFFFFF
	s_cmp_lt_u32 s82, s66                                      // 00000000A574: BF0A4252
	s_cselect_b32 s21, s36, s60                                // 00000000A578: 85153C24
	s_mov_b64 exec, s[20:21]                                   // 00000000A57C: BEFE0114
	buffer_store_dword v80, v6, s[8:11], 0 offen               // 00000000A580: E0701000 80025006
	s_mov_b64 exec, s[36:37]                                   // 00000000A588: BEFE0124
	v_mov_b32_e32 v6, v63                                      // 00000000A58C: 7E0C033F
	s_mov_b64 s[60:61], 0                                      // 00000000A590: BEBC0180
	v_readlane_b32 s82, v3, 10                                 // 00000000A594: D2890052 00011503
	s_and_b32 s82, s82, 0xffffff                               // 00000000A59C: 8652FF52 00FFFFFF
	s_cmp_lt_u32 s82, s66                                      // 00000000A5A4: BF0A4252
	s_cselect_b32 s20, s36, s60                                // 00000000A5A8: 85143C24
	v_readlane_b32 s82, v3, 11                                 // 00000000A5AC: D2890052 00011703
	s_and_b32 s82, s82, 0xffffff                               // 00000000A5B4: 8652FF52 00FFFFFF
	s_cmp_lt_u32 s82, s66                                      // 00000000A5BC: BF0A4252
	s_cselect_b32 s21, s36, s60                                // 00000000A5C0: 85153C24
	s_mov_b64 exec, s[20:21]                                   // 00000000A5C4: BEFE0114
	buffer_store_dword v81, v6, s[8:11], 0 offen               // 00000000A5C8: E0701000 80025106
	s_mov_b64 exec, s[36:37]                                   // 00000000A5D0: BEFE0124
	v_mov_b32_e32 v6, v64                                      // 00000000A5D4: 7E0C0340
	s_mov_b64 s[60:61], 0                                      // 00000000A5D8: BEBC0180
	v_readlane_b32 s82, v3, 12                                 // 00000000A5DC: D2890052 00011903
	s_and_b32 s82, s82, 0xffffff                               // 00000000A5E4: 8652FF52 00FFFFFF
	s_cmp_lt_u32 s82, s66                                      // 00000000A5EC: BF0A4252
	s_cselect_b32 s20, s36, s60                                // 00000000A5F0: 85143C24
	v_readlane_b32 s82, v3, 13                                 // 00000000A5F4: D2890052 00011B03
	s_and_b32 s82, s82, 0xffffff                               // 00000000A5FC: 8652FF52 00FFFFFF
	s_cmp_lt_u32 s82, s66                                      // 00000000A604: BF0A4252
	s_cselect_b32 s21, s36, s60                                // 00000000A608: 85153C24
	s_mov_b64 exec, s[20:21]                                   // 00000000A60C: BEFE0114
	buffer_store_dword v82, v6, s[8:11], 0 offen               // 00000000A610: E0701000 80025206
	s_mov_b64 exec, s[36:37]                                   // 00000000A618: BEFE0124
	v_mov_b32_e32 v6, v65                                      // 00000000A61C: 7E0C0341
	s_mov_b64 s[60:61], 0                                      // 00000000A620: BEBC0180
	v_readlane_b32 s82, v3, 14                                 // 00000000A624: D2890052 00011D03
	s_and_b32 s82, s82, 0xffffff                               // 00000000A62C: 8652FF52 00FFFFFF
	s_cmp_lt_u32 s82, s66                                      // 00000000A634: BF0A4252
	s_cselect_b32 s20, s36, s60                                // 00000000A638: 85143C24
	v_readlane_b32 s82, v3, 15                                 // 00000000A63C: D2890052 00011F03
	s_and_b32 s82, s82, 0xffffff                               // 00000000A644: 8652FF52 00FFFFFF
	s_cmp_lt_u32 s82, s66                                      // 00000000A64C: BF0A4252
	s_cselect_b32 s21, s36, s60                                // 00000000A650: 85153C24
	s_mov_b64 exec, s[20:21]                                   // 00000000A654: BEFE0114
	buffer_store_dword v83, v6, s[8:11], 0 offen               // 00000000A658: E0701000 80025306
	s_mov_b64 exec, s[36:37]                                   // 00000000A660: BEFE0124
	v_mov_b32_e32 v6, v66                                      // 00000000A664: 7E0C0342
	s_mov_b64 s[60:61], 0                                      // 00000000A668: BEBC0180
	v_readlane_b32 s82, v3, 16                                 // 00000000A66C: D2890052 00012103
	s_and_b32 s82, s82, 0xffffff                               // 00000000A674: 8652FF52 00FFFFFF
	s_cmp_lt_u32 s82, s66                                      // 00000000A67C: BF0A4252
	s_cselect_b32 s20, s36, s60                                // 00000000A680: 85143C24
	v_readlane_b32 s82, v3, 17                                 // 00000000A684: D2890052 00012303
	s_and_b32 s82, s82, 0xffffff                               // 00000000A68C: 8652FF52 00FFFFFF
	s_cmp_lt_u32 s82, s66                                      // 00000000A694: BF0A4252
	s_cselect_b32 s21, s36, s60                                // 00000000A698: 85153C24
	s_mov_b64 exec, s[20:21]                                   // 00000000A69C: BEFE0114
	buffer_store_dword v84, v6, s[8:11], 0 offen               // 00000000A6A0: E0701000 80025406
	s_mov_b64 exec, s[36:37]                                   // 00000000A6A8: BEFE0124
	v_mov_b32_e32 v6, v67                                      // 00000000A6AC: 7E0C0343
	s_mov_b64 s[60:61], 0                                      // 00000000A6B0: BEBC0180
	v_readlane_b32 s82, v3, 18                                 // 00000000A6B4: D2890052 00012503
	s_and_b32 s82, s82, 0xffffff                               // 00000000A6BC: 8652FF52 00FFFFFF
	s_cmp_lt_u32 s82, s66                                      // 00000000A6C4: BF0A4252
	s_cselect_b32 s20, s36, s60                                // 00000000A6C8: 85143C24
	v_readlane_b32 s82, v3, 19                                 // 00000000A6CC: D2890052 00012703
	s_and_b32 s82, s82, 0xffffff                               // 00000000A6D4: 8652FF52 00FFFFFF
	s_cmp_lt_u32 s82, s66                                      // 00000000A6DC: BF0A4252
	s_cselect_b32 s21, s36, s60                                // 00000000A6E0: 85153C24
	s_mov_b64 exec, s[20:21]                                   // 00000000A6E4: BEFE0114
	buffer_store_dword v85, v6, s[8:11], 0 offen               // 00000000A6E8: E0701000 80025506
	s_mov_b64 exec, s[36:37]                                   // 00000000A6F0: BEFE0124
	v_mov_b32_e32 v6, v68                                      // 00000000A6F4: 7E0C0344
	s_mov_b64 s[60:61], 0                                      // 00000000A6F8: BEBC0180
	v_readlane_b32 s82, v3, 20                                 // 00000000A6FC: D2890052 00012903
	s_and_b32 s82, s82, 0xffffff                               // 00000000A704: 8652FF52 00FFFFFF
	s_cmp_lt_u32 s82, s66                                      // 00000000A70C: BF0A4252
	s_cselect_b32 s20, s36, s60                                // 00000000A710: 85143C24
	v_readlane_b32 s82, v3, 21                                 // 00000000A714: D2890052 00012B03
	s_and_b32 s82, s82, 0xffffff                               // 00000000A71C: 8652FF52 00FFFFFF
	s_cmp_lt_u32 s82, s66                                      // 00000000A724: BF0A4252
	s_cselect_b32 s21, s36, s60                                // 00000000A728: 85153C24
	s_mov_b64 exec, s[20:21]                                   // 00000000A72C: BEFE0114
	buffer_store_dword v86, v6, s[8:11], 0 offen               // 00000000A730: E0701000 80025606
	s_mov_b64 exec, s[36:37]                                   // 00000000A738: BEFE0124
	v_mov_b32_e32 v6, v69                                      // 00000000A73C: 7E0C0345
	s_mov_b64 s[60:61], 0                                      // 00000000A740: BEBC0180
	v_readlane_b32 s82, v3, 22                                 // 00000000A744: D2890052 00012D03
	s_and_b32 s82, s82, 0xffffff                               // 00000000A74C: 8652FF52 00FFFFFF
	s_cmp_lt_u32 s82, s66                                      // 00000000A754: BF0A4252
	s_cselect_b32 s20, s36, s60                                // 00000000A758: 85143C24
	v_readlane_b32 s82, v3, 23                                 // 00000000A75C: D2890052 00012F03
	s_and_b32 s82, s82, 0xffffff                               // 00000000A764: 8652FF52 00FFFFFF
	s_cmp_lt_u32 s82, s66                                      // 00000000A76C: BF0A4252
	s_cselect_b32 s21, s36, s60                                // 00000000A770: 85153C24
	s_mov_b64 exec, s[20:21]                                   // 00000000A774: BEFE0114
	buffer_store_dword v87, v6, s[8:11], 0 offen               // 00000000A778: E0701000 80025706
	s_mov_b64 exec, s[36:37]                                   // 00000000A780: BEFE0124
	v_mov_b32_e32 v6, v70                                      // 00000000A784: 7E0C0346
	s_mov_b64 s[60:61], 0                                      // 00000000A788: BEBC0180
	v_readlane_b32 s82, v3, 24                                 // 00000000A78C: D2890052 00013103
	s_and_b32 s82, s82, 0xffffff                               // 00000000A794: 8652FF52 00FFFFFF
	s_cmp_lt_u32 s82, s66                                      // 00000000A79C: BF0A4252
	s_cselect_b32 s20, s36, s60                                // 00000000A7A0: 85143C24
	v_readlane_b32 s82, v3, 25                                 // 00000000A7A4: D2890052 00013303
	s_and_b32 s82, s82, 0xffffff                               // 00000000A7AC: 8652FF52 00FFFFFF
	s_cmp_lt_u32 s82, s66                                      // 00000000A7B4: BF0A4252
	s_cselect_b32 s21, s36, s60                                // 00000000A7B8: 85153C24
	s_mov_b64 exec, s[20:21]                                   // 00000000A7BC: BEFE0114
	buffer_store_dword v88, v6, s[8:11], 0 offen               // 00000000A7C0: E0701000 80025806
	s_mov_b64 exec, s[36:37]                                   // 00000000A7C8: BEFE0124
	v_mov_b32_e32 v6, v71                                      // 00000000A7CC: 7E0C0347
	s_mov_b64 s[60:61], 0                                      // 00000000A7D0: BEBC0180
	v_readlane_b32 s82, v3, 26                                 // 00000000A7D4: D2890052 00013503
	s_and_b32 s82, s82, 0xffffff                               // 00000000A7DC: 8652FF52 00FFFFFF
	s_cmp_lt_u32 s82, s66                                      // 00000000A7E4: BF0A4252
	s_cselect_b32 s20, s36, s60                                // 00000000A7E8: 85143C24
	v_readlane_b32 s82, v3, 27                                 // 00000000A7EC: D2890052 00013703
	s_and_b32 s82, s82, 0xffffff                               // 00000000A7F4: 8652FF52 00FFFFFF
	s_cmp_lt_u32 s82, s66                                      // 00000000A7FC: BF0A4252
	s_cselect_b32 s21, s36, s60                                // 00000000A800: 85153C24
	s_mov_b64 exec, s[20:21]                                   // 00000000A804: BEFE0114
	buffer_store_dword v89, v6, s[8:11], 0 offen               // 00000000A808: E0701000 80025906
	s_mov_b64 exec, s[36:37]                                   // 00000000A810: BEFE0124
	s_branch label_257F                                        // 00000000A814: BF8205F6

000000000000a818 <label_1F89>:
	ds_write_b64 v20, v[76:77]                                 // 00000000A818: D89A0000 00004C14
	ds_write_b64 v20, v[80:81] offset:2176                     // 00000000A820: D89A0880 00005014
	ds_write_b64 v20, v[84:85] offset:4352                     // 00000000A828: D89A1100 00005414
	ds_write_b64 v20, v[88:89] offset:6528                     // 00000000A830: D89A1980 00005814
	ds_write_b64 v20, v[92:93] offset:8704                     // 00000000A838: D89A2200 00005C14
	ds_write_b64 v20, v[96:97] offset:10880                    // 00000000A840: D89A2A80 00006014
	ds_write_b64 v20, v[100:101] offset:13056                  // 00000000A848: D89A3300 00006414
	v_lshrrev_b32_e32 v4, 5, v0                                // 00000000A850: 20080085
	v_xor_b32_e32 v5, 1, v4                                    // 00000000A854: 2A0A0881
	s_mul_i32 s60, s65, 2                                      // 00000000A858: 923C8241
	s_cmp_eq_u32 s88, 0                                        // 00000000A85C: BF068058
	s_cselect_b32 s61, 1, 4                                    // 00000000A860: 853D8481
	s_mul_i32 s60, s61, s60                                    // 00000000A864: 923C3C3D
	v_readlane_b32 s82, v3, 0                                  // 00000000A868: D2890052 00010103
	s_lshr_b32 s61, s82, 24                                    // 00000000A870: 8F3D9852
	s_and_b32 s82, s82, 0xffffff                               // 00000000A874: 8652FF52 00FFFFFF
	s_mul_i32 s82, s82, s71                                    // 00000000A87C: 92524752
	s_mul_i32 s61, s60, s61                                    // 00000000A880: 923D3D3C
	s_add_u32 s82, s82, s61                                    // 00000000A884: 80523D52
	v_mul_lo_u32 v6, v5, s82                                   // 00000000A888: D2850006 0000A505
	v_readlane_b32 s82, v3, 1                                  // 00000000A890: D2890052 00010303
	s_lshr_b32 s61, s82, 24                                    // 00000000A898: 8F3D9852
	s_and_b32 s82, s82, 0xffffff                               // 00000000A89C: 8652FF52 00FFFFFF
	s_mul_i32 s82, s82, s71                                    // 00000000A8A4: 92524752
	s_mul_i32 s61, s60, s61                                    // 00000000A8A8: 923D3D3C
	s_add_u32 s82, s82, s61                                    // 00000000A8AC: 80523D52
	v_mul_lo_u32 v7, v4, s82                                   // 00000000A8B0: D2850007 0000A504
	v_add_u32_e32 v58, v6, v7                                  // 00000000A8B8: 68740F06
	v_readlane_b32 s82, v3, 2                                  // 00000000A8BC: D2890052 00010503
	s_lshr_b32 s61, s82, 24                                    // 00000000A8C4: 8F3D9852
	s_and_b32 s82, s82, 0xffffff                               // 00000000A8C8: 8652FF52 00FFFFFF
	s_mul_i32 s82, s82, s71                                    // 00000000A8D0: 92524752
	s_mul_i32 s61, s60, s61                                    // 00000000A8D4: 923D3D3C
	s_add_u32 s82, s82, s61                                    // 00000000A8D8: 80523D52
	v_mul_lo_u32 v6, v5, s82                                   // 00000000A8DC: D2850006 0000A505
	v_readlane_b32 s82, v3, 3                                  // 00000000A8E4: D2890052 00010703
	s_lshr_b32 s61, s82, 24                                    // 00000000A8EC: 8F3D9852
	s_and_b32 s82, s82, 0xffffff                               // 00000000A8F0: 8652FF52 00FFFFFF
	s_mul_i32 s82, s82, s71                                    // 00000000A8F8: 92524752
	s_mul_i32 s61, s60, s61                                    // 00000000A8FC: 923D3D3C
	s_add_u32 s82, s82, s61                                    // 00000000A900: 80523D52
	v_mul_lo_u32 v7, v4, s82                                   // 00000000A904: D2850007 0000A504
	v_add_u32_e32 v59, v6, v7                                  // 00000000A90C: 68760F06
	v_readlane_b32 s82, v3, 4                                  // 00000000A910: D2890052 00010903
	s_lshr_b32 s61, s82, 24                                    // 00000000A918: 8F3D9852
	s_and_b32 s82, s82, 0xffffff                               // 00000000A91C: 8652FF52 00FFFFFF
	s_mul_i32 s82, s82, s71                                    // 00000000A924: 92524752
	s_mul_i32 s61, s60, s61                                    // 00000000A928: 923D3D3C
	s_add_u32 s82, s82, s61                                    // 00000000A92C: 80523D52
	v_mul_lo_u32 v6, v5, s82                                   // 00000000A930: D2850006 0000A505
	v_readlane_b32 s82, v3, 5                                  // 00000000A938: D2890052 00010B03
	s_lshr_b32 s61, s82, 24                                    // 00000000A940: 8F3D9852
	s_and_b32 s82, s82, 0xffffff                               // 00000000A944: 8652FF52 00FFFFFF
	s_mul_i32 s82, s82, s71                                    // 00000000A94C: 92524752
	s_mul_i32 s61, s60, s61                                    // 00000000A950: 923D3D3C
	s_add_u32 s82, s82, s61                                    // 00000000A954: 80523D52
	v_mul_lo_u32 v7, v4, s82                                   // 00000000A958: D2850007 0000A504
	v_add_u32_e32 v60, v6, v7                                  // 00000000A960: 68780F06
	v_readlane_b32 s82, v3, 6                                  // 00000000A964: D2890052 00010D03
	s_lshr_b32 s61, s82, 24                                    // 00000000A96C: 8F3D9852
	s_and_b32 s82, s82, 0xffffff                               // 00000000A970: 8652FF52 00FFFFFF
	s_mul_i32 s82, s82, s71                                    // 00000000A978: 92524752
	s_mul_i32 s61, s60, s61                                    // 00000000A97C: 923D3D3C
	s_add_u32 s82, s82, s61                                    // 00000000A980: 80523D52
	v_mul_lo_u32 v6, v5, s82                                   // 00000000A984: D2850006 0000A505
	v_readlane_b32 s82, v3, 7                                  // 00000000A98C: D2890052 00010F03
	s_lshr_b32 s61, s82, 24                                    // 00000000A994: 8F3D9852
	s_and_b32 s82, s82, 0xffffff                               // 00000000A998: 8652FF52 00FFFFFF
	s_mul_i32 s82, s82, s71                                    // 00000000A9A0: 92524752
	s_mul_i32 s61, s60, s61                                    // 00000000A9A4: 923D3D3C
	s_add_u32 s82, s82, s61                                    // 00000000A9A8: 80523D52
	v_mul_lo_u32 v7, v4, s82                                   // 00000000A9AC: D2850007 0000A504
	v_add_u32_e32 v61, v6, v7                                  // 00000000A9B4: 687A0F06
	v_readlane_b32 s82, v3, 8                                  // 00000000A9B8: D2890052 00011103
	s_lshr_b32 s61, s82, 24                                    // 00000000A9C0: 8F3D9852
	s_and_b32 s82, s82, 0xffffff                               // 00000000A9C4: 8652FF52 00FFFFFF
	s_mul_i32 s82, s82, s71                                    // 00000000A9CC: 92524752
	s_mul_i32 s61, s60, s61                                    // 00000000A9D0: 923D3D3C
	s_add_u32 s82, s82, s61                                    // 00000000A9D4: 80523D52
	v_mul_lo_u32 v6, v5, s82                                   // 00000000A9D8: D2850006 0000A505
	v_readlane_b32 s82, v3, 9                                  // 00000000A9E0: D2890052 00011303
	s_lshr_b32 s61, s82, 24                                    // 00000000A9E8: 8F3D9852
	s_and_b32 s82, s82, 0xffffff                               // 00000000A9EC: 8652FF52 00FFFFFF
	s_mul_i32 s82, s82, s71                                    // 00000000A9F4: 92524752
	s_mul_i32 s61, s60, s61                                    // 00000000A9F8: 923D3D3C
	s_add_u32 s82, s82, s61                                    // 00000000A9FC: 80523D52
	v_mul_lo_u32 v7, v4, s82                                   // 00000000AA00: D2850007 0000A504
	v_add_u32_e32 v62, v6, v7                                  // 00000000AA08: 687C0F06
	v_readlane_b32 s82, v3, 10                                 // 00000000AA0C: D2890052 00011503
	s_lshr_b32 s61, s82, 24                                    // 00000000AA14: 8F3D9852
	s_and_b32 s82, s82, 0xffffff                               // 00000000AA18: 8652FF52 00FFFFFF
	s_mul_i32 s82, s82, s71                                    // 00000000AA20: 92524752
	s_mul_i32 s61, s60, s61                                    // 00000000AA24: 923D3D3C
	s_add_u32 s82, s82, s61                                    // 00000000AA28: 80523D52
	v_mul_lo_u32 v6, v5, s82                                   // 00000000AA2C: D2850006 0000A505
	v_readlane_b32 s82, v3, 11                                 // 00000000AA34: D2890052 00011703
	s_lshr_b32 s61, s82, 24                                    // 00000000AA3C: 8F3D9852
	s_and_b32 s82, s82, 0xffffff                               // 00000000AA40: 8652FF52 00FFFFFF
	s_mul_i32 s82, s82, s71                                    // 00000000AA48: 92524752
	s_mul_i32 s61, s60, s61                                    // 00000000AA4C: 923D3D3C
	s_add_u32 s82, s82, s61                                    // 00000000AA50: 80523D52
	v_mul_lo_u32 v7, v4, s82                                   // 00000000AA54: D2850007 0000A504
	v_add_u32_e32 v63, v6, v7                                  // 00000000AA5C: 687E0F06
	v_readlane_b32 s82, v3, 12                                 // 00000000AA60: D2890052 00011903
	s_lshr_b32 s61, s82, 24                                    // 00000000AA68: 8F3D9852
	s_and_b32 s82, s82, 0xffffff                               // 00000000AA6C: 8652FF52 00FFFFFF
	s_mul_i32 s82, s82, s71                                    // 00000000AA74: 92524752
	s_mul_i32 s61, s60, s61                                    // 00000000AA78: 923D3D3C
	s_add_u32 s82, s82, s61                                    // 00000000AA7C: 80523D52
	v_mul_lo_u32 v6, v5, s82                                   // 00000000AA80: D2850006 0000A505
	v_readlane_b32 s82, v3, 13                                 // 00000000AA88: D2890052 00011B03
	s_lshr_b32 s61, s82, 24                                    // 00000000AA90: 8F3D9852
	s_and_b32 s82, s82, 0xffffff                               // 00000000AA94: 8652FF52 00FFFFFF
	s_mul_i32 s82, s82, s71                                    // 00000000AA9C: 92524752
	s_mul_i32 s61, s60, s61                                    // 00000000AAA0: 923D3D3C
	s_add_u32 s82, s82, s61                                    // 00000000AAA4: 80523D52
	v_mul_lo_u32 v7, v4, s82                                   // 00000000AAA8: D2850007 0000A504
	v_add_u32_e32 v64, v6, v7                                  // 00000000AAB0: 68800F06
	v_readlane_b32 s82, v3, 14                                 // 00000000AAB4: D2890052 00011D03
	s_lshr_b32 s61, s82, 24                                    // 00000000AABC: 8F3D9852
	s_and_b32 s82, s82, 0xffffff                               // 00000000AAC0: 8652FF52 00FFFFFF
	s_mul_i32 s82, s82, s71                                    // 00000000AAC8: 92524752
	s_mul_i32 s61, s60, s61                                    // 00000000AACC: 923D3D3C
	s_add_u32 s82, s82, s61                                    // 00000000AAD0: 80523D52
	v_mul_lo_u32 v6, v5, s82                                   // 00000000AAD4: D2850006 0000A505
	v_readlane_b32 s82, v3, 15                                 // 00000000AADC: D2890052 00011F03
	s_lshr_b32 s61, s82, 24                                    // 00000000AAE4: 8F3D9852
	s_and_b32 s82, s82, 0xffffff                               // 00000000AAE8: 8652FF52 00FFFFFF
	s_mul_i32 s82, s82, s71                                    // 00000000AAF0: 92524752
	s_mul_i32 s61, s60, s61                                    // 00000000AAF4: 923D3D3C
	s_add_u32 s82, s82, s61                                    // 00000000AAF8: 80523D52
	v_mul_lo_u32 v7, v4, s82                                   // 00000000AAFC: D2850007 0000A504
	v_add_u32_e32 v65, v6, v7                                  // 00000000AB04: 68820F06
	v_readlane_b32 s82, v3, 16                                 // 00000000AB08: D2890052 00012103
	s_lshr_b32 s61, s82, 24                                    // 00000000AB10: 8F3D9852
	s_and_b32 s82, s82, 0xffffff                               // 00000000AB14: 8652FF52 00FFFFFF
	s_mul_i32 s82, s82, s71                                    // 00000000AB1C: 92524752
	s_mul_i32 s61, s60, s61                                    // 00000000AB20: 923D3D3C
	s_add_u32 s82, s82, s61                                    // 00000000AB24: 80523D52
	v_mul_lo_u32 v6, v5, s82                                   // 00000000AB28: D2850006 0000A505
	v_readlane_b32 s82, v3, 17                                 // 00000000AB30: D2890052 00012303
	s_lshr_b32 s61, s82, 24                                    // 00000000AB38: 8F3D9852
	s_and_b32 s82, s82, 0xffffff                               // 00000000AB3C: 8652FF52 00FFFFFF
	s_mul_i32 s82, s82, s71                                    // 00000000AB44: 92524752
	s_mul_i32 s61, s60, s61                                    // 00000000AB48: 923D3D3C
	s_add_u32 s82, s82, s61                                    // 00000000AB4C: 80523D52
	v_mul_lo_u32 v7, v4, s82                                   // 00000000AB50: D2850007 0000A504
	v_add_u32_e32 v66, v6, v7                                  // 00000000AB58: 68840F06
	v_readlane_b32 s82, v3, 18                                 // 00000000AB5C: D2890052 00012503
	s_lshr_b32 s61, s82, 24                                    // 00000000AB64: 8F3D9852
	s_and_b32 s82, s82, 0xffffff                               // 00000000AB68: 8652FF52 00FFFFFF
	s_mul_i32 s82, s82, s71                                    // 00000000AB70: 92524752
	s_mul_i32 s61, s60, s61                                    // 00000000AB74: 923D3D3C
	s_add_u32 s82, s82, s61                                    // 00000000AB78: 80523D52
	v_mul_lo_u32 v6, v5, s82                                   // 00000000AB7C: D2850006 0000A505
	v_readlane_b32 s82, v3, 19                                 // 00000000AB84: D2890052 00012703
	s_lshr_b32 s61, s82, 24                                    // 00000000AB8C: 8F3D9852
	s_and_b32 s82, s82, 0xffffff                               // 00000000AB90: 8652FF52 00FFFFFF
	s_mul_i32 s82, s82, s71                                    // 00000000AB98: 92524752
	s_mul_i32 s61, s60, s61                                    // 00000000AB9C: 923D3D3C
	s_add_u32 s82, s82, s61                                    // 00000000ABA0: 80523D52
	v_mul_lo_u32 v7, v4, s82                                   // 00000000ABA4: D2850007 0000A504
	v_add_u32_e32 v67, v6, v7                                  // 00000000ABAC: 68860F06
	v_readlane_b32 s82, v3, 20                                 // 00000000ABB0: D2890052 00012903
	s_lshr_b32 s61, s82, 24                                    // 00000000ABB8: 8F3D9852
	s_and_b32 s82, s82, 0xffffff                               // 00000000ABBC: 8652FF52 00FFFFFF
	s_mul_i32 s82, s82, s71                                    // 00000000ABC4: 92524752
	s_mul_i32 s61, s60, s61                                    // 00000000ABC8: 923D3D3C
	s_add_u32 s82, s82, s61                                    // 00000000ABCC: 80523D52
	v_mul_lo_u32 v6, v5, s82                                   // 00000000ABD0: D2850006 0000A505
	v_readlane_b32 s82, v3, 21                                 // 00000000ABD8: D2890052 00012B03
	s_lshr_b32 s61, s82, 24                                    // 00000000ABE0: 8F3D9852
	s_and_b32 s82, s82, 0xffffff                               // 00000000ABE4: 8652FF52 00FFFFFF
	s_mul_i32 s82, s82, s71                                    // 00000000ABEC: 92524752
	s_mul_i32 s61, s60, s61                                    // 00000000ABF0: 923D3D3C
	s_add_u32 s82, s82, s61                                    // 00000000ABF4: 80523D52
	v_mul_lo_u32 v7, v4, s82                                   // 00000000ABF8: D2850007 0000A504
	v_add_u32_e32 v68, v6, v7                                  // 00000000AC00: 68880F06
	v_readlane_b32 s82, v3, 22                                 // 00000000AC04: D2890052 00012D03
	s_lshr_b32 s61, s82, 24                                    // 00000000AC0C: 8F3D9852
	s_and_b32 s82, s82, 0xffffff                               // 00000000AC10: 8652FF52 00FFFFFF
	s_mul_i32 s82, s82, s71                                    // 00000000AC18: 92524752
	s_mul_i32 s61, s60, s61                                    // 00000000AC1C: 923D3D3C
	s_add_u32 s82, s82, s61                                    // 00000000AC20: 80523D52
	v_mul_lo_u32 v6, v5, s82                                   // 00000000AC24: D2850006 0000A505
	v_readlane_b32 s82, v3, 23                                 // 00000000AC2C: D2890052 00012F03
	s_lshr_b32 s61, s82, 24                                    // 00000000AC34: 8F3D9852
	s_and_b32 s82, s82, 0xffffff                               // 00000000AC38: 8652FF52 00FFFFFF
	s_mul_i32 s82, s82, s71                                    // 00000000AC40: 92524752
	s_mul_i32 s61, s60, s61                                    // 00000000AC44: 923D3D3C
	s_add_u32 s82, s82, s61                                    // 00000000AC48: 80523D52
	v_mul_lo_u32 v7, v4, s82                                   // 00000000AC4C: D2850007 0000A504
	v_add_u32_e32 v69, v6, v7                                  // 00000000AC54: 688A0F06
	v_readlane_b32 s82, v3, 24                                 // 00000000AC58: D2890052 00013103
	s_lshr_b32 s61, s82, 24                                    // 00000000AC60: 8F3D9852
	s_and_b32 s82, s82, 0xffffff                               // 00000000AC64: 8652FF52 00FFFFFF
	s_mul_i32 s82, s82, s71                                    // 00000000AC6C: 92524752
	s_mul_i32 s61, s60, s61                                    // 00000000AC70: 923D3D3C
	s_add_u32 s82, s82, s61                                    // 00000000AC74: 80523D52
	v_mul_lo_u32 v6, v5, s82                                   // 00000000AC78: D2850006 0000A505
	v_readlane_b32 s82, v3, 25                                 // 00000000AC80: D2890052 00013303
	s_lshr_b32 s61, s82, 24                                    // 00000000AC88: 8F3D9852
	s_and_b32 s82, s82, 0xffffff                               // 00000000AC8C: 8652FF52 00FFFFFF
	s_mul_i32 s82, s82, s71                                    // 00000000AC94: 92524752
	s_mul_i32 s61, s60, s61                                    // 00000000AC98: 923D3D3C
	s_add_u32 s82, s82, s61                                    // 00000000AC9C: 80523D52
	v_mul_lo_u32 v7, v4, s82                                   // 00000000ACA0: D2850007 0000A504
	v_add_u32_e32 v70, v6, v7                                  // 00000000ACA8: 688C0F06
	v_readlane_b32 s82, v3, 26                                 // 00000000ACAC: D2890052 00013503
	s_lshr_b32 s61, s82, 24                                    // 00000000ACB4: 8F3D9852
	s_and_b32 s82, s82, 0xffffff                               // 00000000ACB8: 8652FF52 00FFFFFF
	s_mul_i32 s82, s82, s71                                    // 00000000ACC0: 92524752
	s_mul_i32 s61, s60, s61                                    // 00000000ACC4: 923D3D3C
	s_add_u32 s82, s82, s61                                    // 00000000ACC8: 80523D52
	v_mul_lo_u32 v6, v5, s82                                   // 00000000ACCC: D2850006 0000A505
	v_readlane_b32 s82, v3, 27                                 // 00000000ACD4: D2890052 00013703
	s_lshr_b32 s61, s82, 24                                    // 00000000ACDC: 8F3D9852
	s_and_b32 s82, s82, 0xffffff                               // 00000000ACE0: 8652FF52 00FFFFFF
	s_mul_i32 s82, s82, s71                                    // 00000000ACE8: 92524752
	s_mul_i32 s61, s60, s61                                    // 00000000ACEC: 923D3D3C
	s_add_u32 s82, s82, s61                                    // 00000000ACF0: 80523D52
	v_mul_lo_u32 v7, v4, s82                                   // 00000000ACF4: D2850007 0000A504
	v_add_u32_e32 v71, v6, v7                                  // 00000000ACFC: 688E0F06
	v_and_b32_e32 v4, 31, v0                                   // 00000000AD00: 2608009F
	v_lshrrev_b32_e32 v4, 1, v4                                // 00000000AD04: 20080881
	s_cmp_eq_u32 s88, 0                                        // 00000000AD08: BF068058
	s_cselect_b32 s61, 2, 4                                    // 00000000AD0C: 853D8482
	v_mul_lo_u32 v4, v4, s61                                   // 00000000AD10: D2850004 00007B04
	v_and_b32_e64 v5, v0, 1                                    // 00000000AD18: D1130005 00010300
	v_add_u32_e32 v4, v4, v5                                   // 00000000AD20: 68080B04
	v_lshlrev_b32_e32 v4, 2, v4                                // 00000000AD24: 24080882
	v_add_u32_e32 v58, v58, v4                                 // 00000000AD28: 6874093A
	v_add_u32_e32 v59, v59, v4                                 // 00000000AD2C: 6876093B
	v_add_u32_e32 v60, v60, v4                                 // 00000000AD30: 6878093C
	v_add_u32_e32 v61, v61, v4                                 // 00000000AD34: 687A093D
	v_add_u32_e32 v62, v62, v4                                 // 00000000AD38: 687C093E
	v_add_u32_e32 v63, v63, v4                                 // 00000000AD3C: 687E093F
	v_add_u32_e32 v64, v64, v4                                 // 00000000AD40: 68800940
	v_add_u32_e32 v65, v65, v4                                 // 00000000AD44: 68820941
	v_add_u32_e32 v66, v66, v4                                 // 00000000AD48: 68840942
	v_add_u32_e32 v67, v67, v4                                 // 00000000AD4C: 68860943
	v_add_u32_e32 v68, v68, v4                                 // 00000000AD50: 68880944
	v_add_u32_e32 v69, v69, v4                                 // 00000000AD54: 688A0945
	v_add_u32_e32 v70, v70, v4                                 // 00000000AD58: 688C0946
	v_add_u32_e32 v71, v71, v4                                 // 00000000AD5C: 688E0947
	s_waitcnt lgkmcnt(0)                                       // 00000000AD60: BF8CC07F
	s_barrier                                                  // 00000000AD64: BF8A0000
	ds_read_b32 v76, v21                                       // 00000000AD68: D86C0000 4C000015
	ds_read_b32 v77, v21 offset:64                             // 00000000AD70: D86C0040 4D000015
	ds_read_b32 v80, v21 offset:2176                           // 00000000AD78: D86C0880 50000015
	ds_read_b32 v81, v21 offset:2240                           // 00000000AD80: D86C08C0 51000015
	ds_read_b32 v84, v21 offset:4352                           // 00000000AD88: D86C1100 54000015
	ds_read_b32 v85, v21 offset:4416                           // 00000000AD90: D86C1140 55000015
	ds_read_b32 v88, v21 offset:6528                           // 00000000AD98: D86C1980 58000015
	ds_read_b32 v89, v21 offset:6592                           // 00000000ADA0: D86C19C0 59000015
	ds_read_b32 v92, v21 offset:8704                           // 00000000ADA8: D86C2200 5C000015
	ds_read_b32 v93, v21 offset:8768                           // 00000000ADB0: D86C2240 5D000015
	ds_read_b32 v96, v21 offset:10880                          // 00000000ADB8: D86C2A80 60000015
	ds_read_b32 v97, v21 offset:10944                          // 00000000ADC0: D86C2AC0 61000015
	ds_read_b32 v100, v21 offset:13056                         // 00000000ADC8: D86C3300 64000015
	ds_read_b32 v101, v21 offset:13120                         // 00000000ADD0: D86C3340 65000015
	s_waitcnt lgkmcnt(0)                                       // 00000000ADD8: BF8CC07F
	s_mov_b32 s36, -1                                          // 00000000ADDC: BEA400C1
	s_mov_b32 s37, -1                                          // 00000000ADE0: BEA500C1
	v_mov_b32_e32 v7, 0                                        // 00000000ADE4: 7E0E0280
	s_mov_b64 exec, s[36:37]                                   // 00000000ADE8: BEFE0124
	v_mov_b32_e32 v6, v58                                      // 00000000ADEC: 7E0C033A
	s_mov_b64 s[60:61], 0                                      // 00000000ADF0: BEBC0180
	v_readlane_b32 s82, v3, 0                                  // 00000000ADF4: D2890052 00010103
	s_and_b32 s82, s82, 0xffffff                               // 00000000ADFC: 8652FF52 00FFFFFF
	s_cmp_lt_u32 s82, s66                                      // 00000000AE04: BF0A4252
	s_cselect_b32 s20, s36, s60                                // 00000000AE08: 85143C24
	v_readlane_b32 s82, v3, 1                                  // 00000000AE0C: D2890052 00010303
	s_and_b32 s82, s82, 0xffffff                               // 00000000AE14: 8652FF52 00FFFFFF
	s_cmp_lt_u32 s82, s66                                      // 00000000AE1C: BF0A4252
	s_cselect_b32 s21, s36, s60                                // 00000000AE20: 85153C24
	s_mov_b64 exec, s[20:21]                                   // 00000000AE24: BEFE0114
	global_atomic_add_f32 v6, v76, s[8:9]                      // 00000000AE28: DD348000 00084C06
	s_mov_b64 exec, s[36:37]                                   // 00000000AE30: BEFE0124
	v_mov_b32_e32 v6, v59                                      // 00000000AE34: 7E0C033B
	s_mov_b64 s[60:61], 0                                      // 00000000AE38: BEBC0180
	v_readlane_b32 s82, v3, 2                                  // 00000000AE3C: D2890052 00010503
	s_and_b32 s82, s82, 0xffffff                               // 00000000AE44: 8652FF52 00FFFFFF
	s_cmp_lt_u32 s82, s66                                      // 00000000AE4C: BF0A4252
	s_cselect_b32 s20, s36, s60                                // 00000000AE50: 85143C24
	v_readlane_b32 s82, v3, 3                                  // 00000000AE54: D2890052 00010703
	s_and_b32 s82, s82, 0xffffff                               // 00000000AE5C: 8652FF52 00FFFFFF
	s_cmp_lt_u32 s82, s66                                      // 00000000AE64: BF0A4252
	s_cselect_b32 s21, s36, s60                                // 00000000AE68: 85153C24
	s_mov_b64 exec, s[20:21]                                   // 00000000AE6C: BEFE0114
	global_atomic_add_f32 v6, v77, s[8:9]                      // 00000000AE70: DD348000 00084D06
	s_mov_b64 exec, s[36:37]                                   // 00000000AE78: BEFE0124
	v_mov_b32_e32 v6, v60                                      // 00000000AE7C: 7E0C033C
	s_mov_b64 s[60:61], 0                                      // 00000000AE80: BEBC0180
	v_readlane_b32 s82, v3, 4                                  // 00000000AE84: D2890052 00010903
	s_and_b32 s82, s82, 0xffffff                               // 00000000AE8C: 8652FF52 00FFFFFF
	s_cmp_lt_u32 s82, s66                                      // 00000000AE94: BF0A4252
	s_cselect_b32 s20, s36, s60                                // 00000000AE98: 85143C24
	v_readlane_b32 s82, v3, 5                                  // 00000000AE9C: D2890052 00010B03
	s_and_b32 s82, s82, 0xffffff                               // 00000000AEA4: 8652FF52 00FFFFFF
	s_cmp_lt_u32 s82, s66                                      // 00000000AEAC: BF0A4252
	s_cselect_b32 s21, s36, s60                                // 00000000AEB0: 85153C24
	s_mov_b64 exec, s[20:21]                                   // 00000000AEB4: BEFE0114
	global_atomic_add_f32 v6, v80, s[8:9]                      // 00000000AEB8: DD348000 00085006
	s_mov_b64 exec, s[36:37]                                   // 00000000AEC0: BEFE0124
	v_mov_b32_e32 v6, v61                                      // 00000000AEC4: 7E0C033D
	s_mov_b64 s[60:61], 0                                      // 00000000AEC8: BEBC0180
	v_readlane_b32 s82, v3, 6                                  // 00000000AECC: D2890052 00010D03
	s_and_b32 s82, s82, 0xffffff                               // 00000000AED4: 8652FF52 00FFFFFF
	s_cmp_lt_u32 s82, s66                                      // 00000000AEDC: BF0A4252
	s_cselect_b32 s20, s36, s60                                // 00000000AEE0: 85143C24
	v_readlane_b32 s82, v3, 7                                  // 00000000AEE4: D2890052 00010F03
	s_and_b32 s82, s82, 0xffffff                               // 00000000AEEC: 8652FF52 00FFFFFF
	s_cmp_lt_u32 s82, s66                                      // 00000000AEF4: BF0A4252
	s_cselect_b32 s21, s36, s60                                // 00000000AEF8: 85153C24
	s_mov_b64 exec, s[20:21]                                   // 00000000AEFC: BEFE0114
	global_atomic_add_f32 v6, v81, s[8:9]                      // 00000000AF00: DD348000 00085106
	s_mov_b64 exec, s[36:37]                                   // 00000000AF08: BEFE0124
	v_mov_b32_e32 v6, v62                                      // 00000000AF0C: 7E0C033E
	s_mov_b64 s[60:61], 0                                      // 00000000AF10: BEBC0180
	v_readlane_b32 s82, v3, 8                                  // 00000000AF14: D2890052 00011103
	s_and_b32 s82, s82, 0xffffff                               // 00000000AF1C: 8652FF52 00FFFFFF
	s_cmp_lt_u32 s82, s66                                      // 00000000AF24: BF0A4252
	s_cselect_b32 s20, s36, s60                                // 00000000AF28: 85143C24
	v_readlane_b32 s82, v3, 9                                  // 00000000AF2C: D2890052 00011303
	s_and_b32 s82, s82, 0xffffff                               // 00000000AF34: 8652FF52 00FFFFFF
	s_cmp_lt_u32 s82, s66                                      // 00000000AF3C: BF0A4252
	s_cselect_b32 s21, s36, s60                                // 00000000AF40: 85153C24
	s_mov_b64 exec, s[20:21]                                   // 00000000AF44: BEFE0114
	global_atomic_add_f32 v6, v84, s[8:9]                      // 00000000AF48: DD348000 00085406
	s_mov_b64 exec, s[36:37]                                   // 00000000AF50: BEFE0124
	v_mov_b32_e32 v6, v63                                      // 00000000AF54: 7E0C033F
	s_mov_b64 s[60:61], 0                                      // 00000000AF58: BEBC0180
	v_readlane_b32 s82, v3, 10                                 // 00000000AF5C: D2890052 00011503
	s_and_b32 s82, s82, 0xffffff                               // 00000000AF64: 8652FF52 00FFFFFF
	s_cmp_lt_u32 s82, s66                                      // 00000000AF6C: BF0A4252
	s_cselect_b32 s20, s36, s60                                // 00000000AF70: 85143C24
	v_readlane_b32 s82, v3, 11                                 // 00000000AF74: D2890052 00011703
	s_and_b32 s82, s82, 0xffffff                               // 00000000AF7C: 8652FF52 00FFFFFF
	s_cmp_lt_u32 s82, s66                                      // 00000000AF84: BF0A4252
	s_cselect_b32 s21, s36, s60                                // 00000000AF88: 85153C24
	s_mov_b64 exec, s[20:21]                                   // 00000000AF8C: BEFE0114
	global_atomic_add_f32 v6, v85, s[8:9]                      // 00000000AF90: DD348000 00085506
	s_mov_b64 exec, s[36:37]                                   // 00000000AF98: BEFE0124
	v_mov_b32_e32 v6, v64                                      // 00000000AF9C: 7E0C0340
	s_mov_b64 s[60:61], 0                                      // 00000000AFA0: BEBC0180
	v_readlane_b32 s82, v3, 12                                 // 00000000AFA4: D2890052 00011903
	s_and_b32 s82, s82, 0xffffff                               // 00000000AFAC: 8652FF52 00FFFFFF
	s_cmp_lt_u32 s82, s66                                      // 00000000AFB4: BF0A4252
	s_cselect_b32 s20, s36, s60                                // 00000000AFB8: 85143C24
	v_readlane_b32 s82, v3, 13                                 // 00000000AFBC: D2890052 00011B03
	s_and_b32 s82, s82, 0xffffff                               // 00000000AFC4: 8652FF52 00FFFFFF
	s_cmp_lt_u32 s82, s66                                      // 00000000AFCC: BF0A4252
	s_cselect_b32 s21, s36, s60                                // 00000000AFD0: 85153C24
	s_mov_b64 exec, s[20:21]                                   // 00000000AFD4: BEFE0114
	global_atomic_add_f32 v6, v88, s[8:9]                      // 00000000AFD8: DD348000 00085806
	s_mov_b64 exec, s[36:37]                                   // 00000000AFE0: BEFE0124
	v_mov_b32_e32 v6, v65                                      // 00000000AFE4: 7E0C0341
	s_mov_b64 s[60:61], 0                                      // 00000000AFE8: BEBC0180
	v_readlane_b32 s82, v3, 14                                 // 00000000AFEC: D2890052 00011D03
	s_and_b32 s82, s82, 0xffffff                               // 00000000AFF4: 8652FF52 00FFFFFF
	s_cmp_lt_u32 s82, s66                                      // 00000000AFFC: BF0A4252
	s_cselect_b32 s20, s36, s60                                // 00000000B000: 85143C24
	v_readlane_b32 s82, v3, 15                                 // 00000000B004: D2890052 00011F03
	s_and_b32 s82, s82, 0xffffff                               // 00000000B00C: 8652FF52 00FFFFFF
	s_cmp_lt_u32 s82, s66                                      // 00000000B014: BF0A4252
	s_cselect_b32 s21, s36, s60                                // 00000000B018: 85153C24
	s_mov_b64 exec, s[20:21]                                   // 00000000B01C: BEFE0114
	global_atomic_add_f32 v6, v89, s[8:9]                      // 00000000B020: DD348000 00085906
	s_mov_b64 exec, s[36:37]                                   // 00000000B028: BEFE0124
	v_mov_b32_e32 v6, v66                                      // 00000000B02C: 7E0C0342
	s_mov_b64 s[60:61], 0                                      // 00000000B030: BEBC0180
	v_readlane_b32 s82, v3, 16                                 // 00000000B034: D2890052 00012103
	s_and_b32 s82, s82, 0xffffff                               // 00000000B03C: 8652FF52 00FFFFFF
	s_cmp_lt_u32 s82, s66                                      // 00000000B044: BF0A4252
	s_cselect_b32 s20, s36, s60                                // 00000000B048: 85143C24
	v_readlane_b32 s82, v3, 17                                 // 00000000B04C: D2890052 00012303
	s_and_b32 s82, s82, 0xffffff                               // 00000000B054: 8652FF52 00FFFFFF
	s_cmp_lt_u32 s82, s66                                      // 00000000B05C: BF0A4252
	s_cselect_b32 s21, s36, s60                                // 00000000B060: 85153C24
	s_mov_b64 exec, s[20:21]                                   // 00000000B064: BEFE0114
	global_atomic_add_f32 v6, v92, s[8:9]                      // 00000000B068: DD348000 00085C06
	s_mov_b64 exec, s[36:37]                                   // 00000000B070: BEFE0124
	v_mov_b32_e32 v6, v67                                      // 00000000B074: 7E0C0343
	s_mov_b64 s[60:61], 0                                      // 00000000B078: BEBC0180
	v_readlane_b32 s82, v3, 18                                 // 00000000B07C: D2890052 00012503
	s_and_b32 s82, s82, 0xffffff                               // 00000000B084: 8652FF52 00FFFFFF
	s_cmp_lt_u32 s82, s66                                      // 00000000B08C: BF0A4252
	s_cselect_b32 s20, s36, s60                                // 00000000B090: 85143C24
	v_readlane_b32 s82, v3, 19                                 // 00000000B094: D2890052 00012703
	s_and_b32 s82, s82, 0xffffff                               // 00000000B09C: 8652FF52 00FFFFFF
	s_cmp_lt_u32 s82, s66                                      // 00000000B0A4: BF0A4252
	s_cselect_b32 s21, s36, s60                                // 00000000B0A8: 85153C24
	s_mov_b64 exec, s[20:21]                                   // 00000000B0AC: BEFE0114
	global_atomic_add_f32 v6, v93, s[8:9]                      // 00000000B0B0: DD348000 00085D06
	s_mov_b64 exec, s[36:37]                                   // 00000000B0B8: BEFE0124
	v_mov_b32_e32 v6, v68                                      // 00000000B0BC: 7E0C0344
	s_mov_b64 s[60:61], 0                                      // 00000000B0C0: BEBC0180
	v_readlane_b32 s82, v3, 20                                 // 00000000B0C4: D2890052 00012903
	s_and_b32 s82, s82, 0xffffff                               // 00000000B0CC: 8652FF52 00FFFFFF
	s_cmp_lt_u32 s82, s66                                      // 00000000B0D4: BF0A4252
	s_cselect_b32 s20, s36, s60                                // 00000000B0D8: 85143C24
	v_readlane_b32 s82, v3, 21                                 // 00000000B0DC: D2890052 00012B03
	s_and_b32 s82, s82, 0xffffff                               // 00000000B0E4: 8652FF52 00FFFFFF
	s_cmp_lt_u32 s82, s66                                      // 00000000B0EC: BF0A4252
	s_cselect_b32 s21, s36, s60                                // 00000000B0F0: 85153C24
	s_mov_b64 exec, s[20:21]                                   // 00000000B0F4: BEFE0114
	global_atomic_add_f32 v6, v96, s[8:9]                      // 00000000B0F8: DD348000 00086006
	s_mov_b64 exec, s[36:37]                                   // 00000000B100: BEFE0124
	v_mov_b32_e32 v6, v69                                      // 00000000B104: 7E0C0345
	s_mov_b64 s[60:61], 0                                      // 00000000B108: BEBC0180
	v_readlane_b32 s82, v3, 22                                 // 00000000B10C: D2890052 00012D03
	s_and_b32 s82, s82, 0xffffff                               // 00000000B114: 8652FF52 00FFFFFF
	s_cmp_lt_u32 s82, s66                                      // 00000000B11C: BF0A4252
	s_cselect_b32 s20, s36, s60                                // 00000000B120: 85143C24
	v_readlane_b32 s82, v3, 23                                 // 00000000B124: D2890052 00012F03
	s_and_b32 s82, s82, 0xffffff                               // 00000000B12C: 8652FF52 00FFFFFF
	s_cmp_lt_u32 s82, s66                                      // 00000000B134: BF0A4252
	s_cselect_b32 s21, s36, s60                                // 00000000B138: 85153C24
	s_mov_b64 exec, s[20:21]                                   // 00000000B13C: BEFE0114
	global_atomic_add_f32 v6, v97, s[8:9]                      // 00000000B140: DD348000 00086106
	s_mov_b64 exec, s[36:37]                                   // 00000000B148: BEFE0124
	v_mov_b32_e32 v6, v70                                      // 00000000B14C: 7E0C0346
	s_mov_b64 s[60:61], 0                                      // 00000000B150: BEBC0180
	v_readlane_b32 s82, v3, 24                                 // 00000000B154: D2890052 00013103
	s_and_b32 s82, s82, 0xffffff                               // 00000000B15C: 8652FF52 00FFFFFF
	s_cmp_lt_u32 s82, s66                                      // 00000000B164: BF0A4252
	s_cselect_b32 s20, s36, s60                                // 00000000B168: 85143C24
	v_readlane_b32 s82, v3, 25                                 // 00000000B16C: D2890052 00013303
	s_and_b32 s82, s82, 0xffffff                               // 00000000B174: 8652FF52 00FFFFFF
	s_cmp_lt_u32 s82, s66                                      // 00000000B17C: BF0A4252
	s_cselect_b32 s21, s36, s60                                // 00000000B180: 85153C24
	s_mov_b64 exec, s[20:21]                                   // 00000000B184: BEFE0114
	global_atomic_add_f32 v6, v100, s[8:9]                     // 00000000B188: DD348000 00086406
	s_mov_b64 exec, s[36:37]                                   // 00000000B190: BEFE0124
	v_mov_b32_e32 v6, v71                                      // 00000000B194: 7E0C0347
	s_mov_b64 s[60:61], 0                                      // 00000000B198: BEBC0180
	v_readlane_b32 s82, v3, 26                                 // 00000000B19C: D2890052 00013503
	s_and_b32 s82, s82, 0xffffff                               // 00000000B1A4: 8652FF52 00FFFFFF
	s_cmp_lt_u32 s82, s66                                      // 00000000B1AC: BF0A4252
	s_cselect_b32 s20, s36, s60                                // 00000000B1B0: 85143C24
	v_readlane_b32 s82, v3, 27                                 // 00000000B1B4: D2890052 00013703
	s_and_b32 s82, s82, 0xffffff                               // 00000000B1BC: 8652FF52 00FFFFFF
	s_cmp_lt_u32 s82, s66                                      // 00000000B1C4: BF0A4252
	s_cselect_b32 s21, s36, s60                                // 00000000B1C8: 85153C24
	s_mov_b64 exec, s[20:21]                                   // 00000000B1CC: BEFE0114
	global_atomic_add_f32 v6, v101, s[8:9]                     // 00000000B1D0: DD348000 00086506
	s_mov_b64 exec, s[36:37]                                   // 00000000B1D8: BEFE0124
	ds_write_b64 v20, v[78:79]                                 // 00000000B1DC: D89A0000 00004E14
	ds_write_b64 v20, v[82:83] offset:2176                     // 00000000B1E4: D89A0880 00005214
	ds_write_b64 v20, v[86:87] offset:4352                     // 00000000B1EC: D89A1100 00005614
	ds_write_b64 v20, v[90:91] offset:6528                     // 00000000B1F4: D89A1980 00005A14
	ds_write_b64 v20, v[94:95] offset:8704                     // 00000000B1FC: D89A2200 00005E14
	ds_write_b64 v20, v[98:99] offset:10880                    // 00000000B204: D89A2A80 00006214
	ds_write_b64 v20, v[102:103] offset:13056                  // 00000000B20C: D89A3300 00006614
	s_waitcnt lgkmcnt(0)                                       // 00000000B214: BF8CC07F
	s_barrier                                                  // 00000000B218: BF8A0000
	ds_read_b32 v78, v21                                       // 00000000B21C: D86C0000 4E000015
	ds_read_b32 v79, v21 offset:64                             // 00000000B224: D86C0040 4F000015
	ds_read_b32 v82, v21 offset:2176                           // 00000000B22C: D86C0880 52000015
	ds_read_b32 v83, v21 offset:2240                           // 00000000B234: D86C08C0 53000015
	ds_read_b32 v86, v21 offset:4352                           // 00000000B23C: D86C1100 56000015
	ds_read_b32 v87, v21 offset:4416                           // 00000000B244: D86C1140 57000015
	ds_read_b32 v90, v21 offset:6528                           // 00000000B24C: D86C1980 5A000015
	ds_read_b32 v91, v21 offset:6592                           // 00000000B254: D86C19C0 5B000015
	ds_read_b32 v94, v21 offset:8704                           // 00000000B25C: D86C2200 5E000015
	ds_read_b32 v95, v21 offset:8768                           // 00000000B264: D86C2240 5F000015
	ds_read_b32 v98, v21 offset:10880                          // 00000000B26C: D86C2A80 62000015
	ds_read_b32 v99, v21 offset:10944                          // 00000000B274: D86C2AC0 63000015
	ds_read_b32 v102, v21 offset:13056                         // 00000000B27C: D86C3300 66000015
	ds_read_b32 v103, v21 offset:13120                         // 00000000B284: D86C3340 67000015
	s_waitcnt lgkmcnt(0)                                       // 00000000B28C: BF8CC07F
	v_mov_b32_e32 v7, 0                                        // 00000000B290: 7E0E0280
	s_mov_b64 exec, s[36:37]                                   // 00000000B294: BEFE0124
	v_mov_b32_e32 v6, v58                                      // 00000000B298: 7E0C033A
	s_mov_b64 s[60:61], 0                                      // 00000000B29C: BEBC0180
	v_readlane_b32 s82, v3, 0                                  // 00000000B2A0: D2890052 00010103
	s_and_b32 s82, s82, 0xffffff                               // 00000000B2A8: 8652FF52 00FFFFFF
	s_cmp_lt_u32 s82, s66                                      // 00000000B2B0: BF0A4252
	s_cselect_b32 s20, s36, s60                                // 00000000B2B4: 85143C24
	v_readlane_b32 s82, v3, 1                                  // 00000000B2B8: D2890052 00010303
	s_and_b32 s82, s82, 0xffffff                               // 00000000B2C0: 8652FF52 00FFFFFF
	s_cmp_lt_u32 s82, s66                                      // 00000000B2C8: BF0A4252
	s_cselect_b32 s21, s36, s60                                // 00000000B2CC: 85153C24
	s_mov_b64 exec, s[20:21]                                   // 00000000B2D0: BEFE0114
	global_atomic_add_f32 v6, v78, s[8:9] offset:8             // 00000000B2D4: DD348008 00084E06
	s_mov_b64 exec, s[36:37]                                   // 00000000B2DC: BEFE0124
	v_mov_b32_e32 v6, v59                                      // 00000000B2E0: 7E0C033B
	s_mov_b64 s[60:61], 0                                      // 00000000B2E4: BEBC0180
	v_readlane_b32 s82, v3, 2                                  // 00000000B2E8: D2890052 00010503
	s_and_b32 s82, s82, 0xffffff                               // 00000000B2F0: 8652FF52 00FFFFFF
	s_cmp_lt_u32 s82, s66                                      // 00000000B2F8: BF0A4252
	s_cselect_b32 s20, s36, s60                                // 00000000B2FC: 85143C24
	v_readlane_b32 s82, v3, 3                                  // 00000000B300: D2890052 00010703
	s_and_b32 s82, s82, 0xffffff                               // 00000000B308: 8652FF52 00FFFFFF
	s_cmp_lt_u32 s82, s66                                      // 00000000B310: BF0A4252
	s_cselect_b32 s21, s36, s60                                // 00000000B314: 85153C24
	s_mov_b64 exec, s[20:21]                                   // 00000000B318: BEFE0114
	global_atomic_add_f32 v6, v79, s[8:9] offset:8             // 00000000B31C: DD348008 00084F06
	s_mov_b64 exec, s[36:37]                                   // 00000000B324: BEFE0124
	v_mov_b32_e32 v6, v60                                      // 00000000B328: 7E0C033C
	s_mov_b64 s[60:61], 0                                      // 00000000B32C: BEBC0180
	v_readlane_b32 s82, v3, 4                                  // 00000000B330: D2890052 00010903
	s_and_b32 s82, s82, 0xffffff                               // 00000000B338: 8652FF52 00FFFFFF
	s_cmp_lt_u32 s82, s66                                      // 00000000B340: BF0A4252
	s_cselect_b32 s20, s36, s60                                // 00000000B344: 85143C24
	v_readlane_b32 s82, v3, 5                                  // 00000000B348: D2890052 00010B03
	s_and_b32 s82, s82, 0xffffff                               // 00000000B350: 8652FF52 00FFFFFF
	s_cmp_lt_u32 s82, s66                                      // 00000000B358: BF0A4252
	s_cselect_b32 s21, s36, s60                                // 00000000B35C: 85153C24
	s_mov_b64 exec, s[20:21]                                   // 00000000B360: BEFE0114
	global_atomic_add_f32 v6, v82, s[8:9] offset:8             // 00000000B364: DD348008 00085206
	s_mov_b64 exec, s[36:37]                                   // 00000000B36C: BEFE0124
	v_mov_b32_e32 v6, v61                                      // 00000000B370: 7E0C033D
	s_mov_b64 s[60:61], 0                                      // 00000000B374: BEBC0180
	v_readlane_b32 s82, v3, 6                                  // 00000000B378: D2890052 00010D03
	s_and_b32 s82, s82, 0xffffff                               // 00000000B380: 8652FF52 00FFFFFF
	s_cmp_lt_u32 s82, s66                                      // 00000000B388: BF0A4252
	s_cselect_b32 s20, s36, s60                                // 00000000B38C: 85143C24
	v_readlane_b32 s82, v3, 7                                  // 00000000B390: D2890052 00010F03
	s_and_b32 s82, s82, 0xffffff                               // 00000000B398: 8652FF52 00FFFFFF
	s_cmp_lt_u32 s82, s66                                      // 00000000B3A0: BF0A4252
	s_cselect_b32 s21, s36, s60                                // 00000000B3A4: 85153C24
	s_mov_b64 exec, s[20:21]                                   // 00000000B3A8: BEFE0114
	global_atomic_add_f32 v6, v83, s[8:9] offset:8             // 00000000B3AC: DD348008 00085306
	s_mov_b64 exec, s[36:37]                                   // 00000000B3B4: BEFE0124
	v_mov_b32_e32 v6, v62                                      // 00000000B3B8: 7E0C033E
	s_mov_b64 s[60:61], 0                                      // 00000000B3BC: BEBC0180
	v_readlane_b32 s82, v3, 8                                  // 00000000B3C0: D2890052 00011103
	s_and_b32 s82, s82, 0xffffff                               // 00000000B3C8: 8652FF52 00FFFFFF
	s_cmp_lt_u32 s82, s66                                      // 00000000B3D0: BF0A4252
	s_cselect_b32 s20, s36, s60                                // 00000000B3D4: 85143C24
	v_readlane_b32 s82, v3, 9                                  // 00000000B3D8: D2890052 00011303
	s_and_b32 s82, s82, 0xffffff                               // 00000000B3E0: 8652FF52 00FFFFFF
	s_cmp_lt_u32 s82, s66                                      // 00000000B3E8: BF0A4252
	s_cselect_b32 s21, s36, s60                                // 00000000B3EC: 85153C24
	s_mov_b64 exec, s[20:21]                                   // 00000000B3F0: BEFE0114
	global_atomic_add_f32 v6, v86, s[8:9] offset:8             // 00000000B3F4: DD348008 00085606
	s_mov_b64 exec, s[36:37]                                   // 00000000B3FC: BEFE0124
	v_mov_b32_e32 v6, v63                                      // 00000000B400: 7E0C033F
	s_mov_b64 s[60:61], 0                                      // 00000000B404: BEBC0180
	v_readlane_b32 s82, v3, 10                                 // 00000000B408: D2890052 00011503
	s_and_b32 s82, s82, 0xffffff                               // 00000000B410: 8652FF52 00FFFFFF
	s_cmp_lt_u32 s82, s66                                      // 00000000B418: BF0A4252
	s_cselect_b32 s20, s36, s60                                // 00000000B41C: 85143C24
	v_readlane_b32 s82, v3, 11                                 // 00000000B420: D2890052 00011703
	s_and_b32 s82, s82, 0xffffff                               // 00000000B428: 8652FF52 00FFFFFF
	s_cmp_lt_u32 s82, s66                                      // 00000000B430: BF0A4252
	s_cselect_b32 s21, s36, s60                                // 00000000B434: 85153C24
	s_mov_b64 exec, s[20:21]                                   // 00000000B438: BEFE0114
	global_atomic_add_f32 v6, v87, s[8:9] offset:8             // 00000000B43C: DD348008 00085706
	s_mov_b64 exec, s[36:37]                                   // 00000000B444: BEFE0124
	v_mov_b32_e32 v6, v64                                      // 00000000B448: 7E0C0340
	s_mov_b64 s[60:61], 0                                      // 00000000B44C: BEBC0180
	v_readlane_b32 s82, v3, 12                                 // 00000000B450: D2890052 00011903
	s_and_b32 s82, s82, 0xffffff                               // 00000000B458: 8652FF52 00FFFFFF
	s_cmp_lt_u32 s82, s66                                      // 00000000B460: BF0A4252
	s_cselect_b32 s20, s36, s60                                // 00000000B464: 85143C24
	v_readlane_b32 s82, v3, 13                                 // 00000000B468: D2890052 00011B03
	s_and_b32 s82, s82, 0xffffff                               // 00000000B470: 8652FF52 00FFFFFF
	s_cmp_lt_u32 s82, s66                                      // 00000000B478: BF0A4252
	s_cselect_b32 s21, s36, s60                                // 00000000B47C: 85153C24
	s_mov_b64 exec, s[20:21]                                   // 00000000B480: BEFE0114
	global_atomic_add_f32 v6, v90, s[8:9] offset:8             // 00000000B484: DD348008 00085A06
	s_mov_b64 exec, s[36:37]                                   // 00000000B48C: BEFE0124
	v_mov_b32_e32 v6, v65                                      // 00000000B490: 7E0C0341
	s_mov_b64 s[60:61], 0                                      // 00000000B494: BEBC0180
	v_readlane_b32 s82, v3, 14                                 // 00000000B498: D2890052 00011D03
	s_and_b32 s82, s82, 0xffffff                               // 00000000B4A0: 8652FF52 00FFFFFF
	s_cmp_lt_u32 s82, s66                                      // 00000000B4A8: BF0A4252
	s_cselect_b32 s20, s36, s60                                // 00000000B4AC: 85143C24
	v_readlane_b32 s82, v3, 15                                 // 00000000B4B0: D2890052 00011F03
	s_and_b32 s82, s82, 0xffffff                               // 00000000B4B8: 8652FF52 00FFFFFF
	s_cmp_lt_u32 s82, s66                                      // 00000000B4C0: BF0A4252
	s_cselect_b32 s21, s36, s60                                // 00000000B4C4: 85153C24
	s_mov_b64 exec, s[20:21]                                   // 00000000B4C8: BEFE0114
	global_atomic_add_f32 v6, v91, s[8:9] offset:8             // 00000000B4CC: DD348008 00085B06
	s_mov_b64 exec, s[36:37]                                   // 00000000B4D4: BEFE0124
	v_mov_b32_e32 v6, v66                                      // 00000000B4D8: 7E0C0342
	s_mov_b64 s[60:61], 0                                      // 00000000B4DC: BEBC0180
	v_readlane_b32 s82, v3, 16                                 // 00000000B4E0: D2890052 00012103
	s_and_b32 s82, s82, 0xffffff                               // 00000000B4E8: 8652FF52 00FFFFFF
	s_cmp_lt_u32 s82, s66                                      // 00000000B4F0: BF0A4252
	s_cselect_b32 s20, s36, s60                                // 00000000B4F4: 85143C24
	v_readlane_b32 s82, v3, 17                                 // 00000000B4F8: D2890052 00012303
	s_and_b32 s82, s82, 0xffffff                               // 00000000B500: 8652FF52 00FFFFFF
	s_cmp_lt_u32 s82, s66                                      // 00000000B508: BF0A4252
	s_cselect_b32 s21, s36, s60                                // 00000000B50C: 85153C24
	s_mov_b64 exec, s[20:21]                                   // 00000000B510: BEFE0114
	global_atomic_add_f32 v6, v94, s[8:9] offset:8             // 00000000B514: DD348008 00085E06
	s_mov_b64 exec, s[36:37]                                   // 00000000B51C: BEFE0124
	v_mov_b32_e32 v6, v67                                      // 00000000B520: 7E0C0343
	s_mov_b64 s[60:61], 0                                      // 00000000B524: BEBC0180
	v_readlane_b32 s82, v3, 18                                 // 00000000B528: D2890052 00012503
	s_and_b32 s82, s82, 0xffffff                               // 00000000B530: 8652FF52 00FFFFFF
	s_cmp_lt_u32 s82, s66                                      // 00000000B538: BF0A4252
	s_cselect_b32 s20, s36, s60                                // 00000000B53C: 85143C24
	v_readlane_b32 s82, v3, 19                                 // 00000000B540: D2890052 00012703
	s_and_b32 s82, s82, 0xffffff                               // 00000000B548: 8652FF52 00FFFFFF
	s_cmp_lt_u32 s82, s66                                      // 00000000B550: BF0A4252
	s_cselect_b32 s21, s36, s60                                // 00000000B554: 85153C24
	s_mov_b64 exec, s[20:21]                                   // 00000000B558: BEFE0114
	global_atomic_add_f32 v6, v95, s[8:9] offset:8             // 00000000B55C: DD348008 00085F06
	s_mov_b64 exec, s[36:37]                                   // 00000000B564: BEFE0124
	v_mov_b32_e32 v6, v68                                      // 00000000B568: 7E0C0344
	s_mov_b64 s[60:61], 0                                      // 00000000B56C: BEBC0180
	v_readlane_b32 s82, v3, 20                                 // 00000000B570: D2890052 00012903
	s_and_b32 s82, s82, 0xffffff                               // 00000000B578: 8652FF52 00FFFFFF
	s_cmp_lt_u32 s82, s66                                      // 00000000B580: BF0A4252
	s_cselect_b32 s20, s36, s60                                // 00000000B584: 85143C24
	v_readlane_b32 s82, v3, 21                                 // 00000000B588: D2890052 00012B03
	s_and_b32 s82, s82, 0xffffff                               // 00000000B590: 8652FF52 00FFFFFF
	s_cmp_lt_u32 s82, s66                                      // 00000000B598: BF0A4252
	s_cselect_b32 s21, s36, s60                                // 00000000B59C: 85153C24
	s_mov_b64 exec, s[20:21]                                   // 00000000B5A0: BEFE0114
	global_atomic_add_f32 v6, v98, s[8:9] offset:8             // 00000000B5A4: DD348008 00086206
	s_mov_b64 exec, s[36:37]                                   // 00000000B5AC: BEFE0124
	v_mov_b32_e32 v6, v69                                      // 00000000B5B0: 7E0C0345
	s_mov_b64 s[60:61], 0                                      // 00000000B5B4: BEBC0180
	v_readlane_b32 s82, v3, 22                                 // 00000000B5B8: D2890052 00012D03
	s_and_b32 s82, s82, 0xffffff                               // 00000000B5C0: 8652FF52 00FFFFFF
	s_cmp_lt_u32 s82, s66                                      // 00000000B5C8: BF0A4252
	s_cselect_b32 s20, s36, s60                                // 00000000B5CC: 85143C24
	v_readlane_b32 s82, v3, 23                                 // 00000000B5D0: D2890052 00012F03
	s_and_b32 s82, s82, 0xffffff                               // 00000000B5D8: 8652FF52 00FFFFFF
	s_cmp_lt_u32 s82, s66                                      // 00000000B5E0: BF0A4252
	s_cselect_b32 s21, s36, s60                                // 00000000B5E4: 85153C24
	s_mov_b64 exec, s[20:21]                                   // 00000000B5E8: BEFE0114
	global_atomic_add_f32 v6, v99, s[8:9] offset:8             // 00000000B5EC: DD348008 00086306
	s_mov_b64 exec, s[36:37]                                   // 00000000B5F4: BEFE0124
	v_mov_b32_e32 v6, v70                                      // 00000000B5F8: 7E0C0346
	s_mov_b64 s[60:61], 0                                      // 00000000B5FC: BEBC0180
	v_readlane_b32 s82, v3, 24                                 // 00000000B600: D2890052 00013103
	s_and_b32 s82, s82, 0xffffff                               // 00000000B608: 8652FF52 00FFFFFF
	s_cmp_lt_u32 s82, s66                                      // 00000000B610: BF0A4252
	s_cselect_b32 s20, s36, s60                                // 00000000B614: 85143C24
	v_readlane_b32 s82, v3, 25                                 // 00000000B618: D2890052 00013303
	s_and_b32 s82, s82, 0xffffff                               // 00000000B620: 8652FF52 00FFFFFF
	s_cmp_lt_u32 s82, s66                                      // 00000000B628: BF0A4252
	s_cselect_b32 s21, s36, s60                                // 00000000B62C: 85153C24
	s_mov_b64 exec, s[20:21]                                   // 00000000B630: BEFE0114
	global_atomic_add_f32 v6, v102, s[8:9] offset:8            // 00000000B634: DD348008 00086606
	s_mov_b64 exec, s[36:37]                                   // 00000000B63C: BEFE0124
	v_mov_b32_e32 v6, v71                                      // 00000000B640: 7E0C0347
	s_mov_b64 s[60:61], 0                                      // 00000000B644: BEBC0180
	v_readlane_b32 s82, v3, 26                                 // 00000000B648: D2890052 00013503
	s_and_b32 s82, s82, 0xffffff                               // 00000000B650: 8652FF52 00FFFFFF
	s_cmp_lt_u32 s82, s66                                      // 00000000B658: BF0A4252
	s_cselect_b32 s20, s36, s60                                // 00000000B65C: 85143C24
	v_readlane_b32 s82, v3, 27                                 // 00000000B660: D2890052 00013703
	s_and_b32 s82, s82, 0xffffff                               // 00000000B668: 8652FF52 00FFFFFF
	s_cmp_lt_u32 s82, s66                                      // 00000000B670: BF0A4252
	s_cselect_b32 s21, s36, s60                                // 00000000B674: 85153C24
	s_mov_b64 exec, s[20:21]                                   // 00000000B678: BEFE0114
	global_atomic_add_f32 v6, v103, s[8:9] offset:8            // 00000000B67C: DD348008 00086706
	s_mov_b64 exec, s[36:37]                                   // 00000000B684: BEFE0124
	ds_write_b64 v20, v[104:105]                               // 00000000B688: D89A0000 00006814
	ds_write_b64 v20, v[108:109] offset:2176                   // 00000000B690: D89A0880 00006C14
	ds_write_b64 v20, v[112:113] offset:4352                   // 00000000B698: D89A1100 00007014
	ds_write_b64 v20, v[116:117] offset:6528                   // 00000000B6A0: D89A1980 00007414
	ds_write_b64 v20, v[120:121] offset:8704                   // 00000000B6A8: D89A2200 00007814
	ds_write_b64 v20, v[124:125] offset:10880                  // 00000000B6B0: D89A2A80 00007C14
	ds_write_b64 v20, v[128:129] offset:13056                  // 00000000B6B8: D89A3300 00008014
	s_waitcnt lgkmcnt(0)                                       // 00000000B6C0: BF8CC07F
	s_barrier                                                  // 00000000B6C4: BF8A0000
	ds_read_b32 v104, v21                                      // 00000000B6C8: D86C0000 68000015
	ds_read_b32 v105, v21 offset:64                            // 00000000B6D0: D86C0040 69000015
	ds_read_b32 v108, v21 offset:2176                          // 00000000B6D8: D86C0880 6C000015
	ds_read_b32 v109, v21 offset:2240                          // 00000000B6E0: D86C08C0 6D000015
	ds_read_b32 v112, v21 offset:4352                          // 00000000B6E8: D86C1100 70000015
	ds_read_b32 v113, v21 offset:4416                          // 00000000B6F0: D86C1140 71000015
	ds_read_b32 v116, v21 offset:6528                          // 00000000B6F8: D86C1980 74000015
	ds_read_b32 v117, v21 offset:6592                          // 00000000B700: D86C19C0 75000015
	ds_read_b32 v120, v21 offset:8704                          // 00000000B708: D86C2200 78000015
	ds_read_b32 v121, v21 offset:8768                          // 00000000B710: D86C2240 79000015
	ds_read_b32 v124, v21 offset:10880                         // 00000000B718: D86C2A80 7C000015
	ds_read_b32 v125, v21 offset:10944                         // 00000000B720: D86C2AC0 7D000015
	ds_read_b32 v128, v21 offset:13056                         // 00000000B728: D86C3300 80000015
	ds_read_b32 v129, v21 offset:13120                         // 00000000B730: D86C3340 81000015
	s_mul_i32 s60, s65, 4                                      // 00000000B738: 923C8441
	s_add_u32 s8, s60, s8                                      // 00000000B73C: 8008083C
	s_addc_u32 s9, 0, s9                                       // 00000000B740: 82090980
	s_waitcnt lgkmcnt(0)                                       // 00000000B744: BF8CC07F
	v_mov_b32_e32 v7, 0                                        // 00000000B748: 7E0E0280
	s_mov_b64 exec, s[36:37]                                   // 00000000B74C: BEFE0124
	v_mov_b32_e32 v6, v58                                      // 00000000B750: 7E0C033A
	s_mov_b64 s[60:61], 0                                      // 00000000B754: BEBC0180
	v_readlane_b32 s82, v3, 0                                  // 00000000B758: D2890052 00010103
	s_and_b32 s82, s82, 0xffffff                               // 00000000B760: 8652FF52 00FFFFFF
	s_cmp_lt_u32 s82, s66                                      // 00000000B768: BF0A4252
	s_cselect_b32 s20, s36, s60                                // 00000000B76C: 85143C24
	v_readlane_b32 s82, v3, 1                                  // 00000000B770: D2890052 00010303
	s_and_b32 s82, s82, 0xffffff                               // 00000000B778: 8652FF52 00FFFFFF
	s_cmp_lt_u32 s82, s66                                      // 00000000B780: BF0A4252
	s_cselect_b32 s21, s36, s60                                // 00000000B784: 85153C24
	s_mov_b64 exec, s[20:21]                                   // 00000000B788: BEFE0114
	global_atomic_add_f32 v6, v104, s[8:9]                     // 00000000B78C: DD348000 00086806
	s_mov_b64 exec, s[36:37]                                   // 00000000B794: BEFE0124
	v_mov_b32_e32 v6, v59                                      // 00000000B798: 7E0C033B
	s_mov_b64 s[60:61], 0                                      // 00000000B79C: BEBC0180
	v_readlane_b32 s82, v3, 2                                  // 00000000B7A0: D2890052 00010503
	s_and_b32 s82, s82, 0xffffff                               // 00000000B7A8: 8652FF52 00FFFFFF
	s_cmp_lt_u32 s82, s66                                      // 00000000B7B0: BF0A4252
	s_cselect_b32 s20, s36, s60                                // 00000000B7B4: 85143C24
	v_readlane_b32 s82, v3, 3                                  // 00000000B7B8: D2890052 00010703
	s_and_b32 s82, s82, 0xffffff                               // 00000000B7C0: 8652FF52 00FFFFFF
	s_cmp_lt_u32 s82, s66                                      // 00000000B7C8: BF0A4252
	s_cselect_b32 s21, s36, s60                                // 00000000B7CC: 85153C24
	s_mov_b64 exec, s[20:21]                                   // 00000000B7D0: BEFE0114
	global_atomic_add_f32 v6, v105, s[8:9]                     // 00000000B7D4: DD348000 00086906
	s_mov_b64 exec, s[36:37]                                   // 00000000B7DC: BEFE0124
	v_mov_b32_e32 v6, v60                                      // 00000000B7E0: 7E0C033C
	s_mov_b64 s[60:61], 0                                      // 00000000B7E4: BEBC0180
	v_readlane_b32 s82, v3, 4                                  // 00000000B7E8: D2890052 00010903
	s_and_b32 s82, s82, 0xffffff                               // 00000000B7F0: 8652FF52 00FFFFFF
	s_cmp_lt_u32 s82, s66                                      // 00000000B7F8: BF0A4252
	s_cselect_b32 s20, s36, s60                                // 00000000B7FC: 85143C24
	v_readlane_b32 s82, v3, 5                                  // 00000000B800: D2890052 00010B03
	s_and_b32 s82, s82, 0xffffff                               // 00000000B808: 8652FF52 00FFFFFF
	s_cmp_lt_u32 s82, s66                                      // 00000000B810: BF0A4252
	s_cselect_b32 s21, s36, s60                                // 00000000B814: 85153C24
	s_mov_b64 exec, s[20:21]                                   // 00000000B818: BEFE0114
	global_atomic_add_f32 v6, v108, s[8:9]                     // 00000000B81C: DD348000 00086C06
	s_mov_b64 exec, s[36:37]                                   // 00000000B824: BEFE0124
	v_mov_b32_e32 v6, v61                                      // 00000000B828: 7E0C033D
	s_mov_b64 s[60:61], 0                                      // 00000000B82C: BEBC0180
	v_readlane_b32 s82, v3, 6                                  // 00000000B830: D2890052 00010D03
	s_and_b32 s82, s82, 0xffffff                               // 00000000B838: 8652FF52 00FFFFFF
	s_cmp_lt_u32 s82, s66                                      // 00000000B840: BF0A4252
	s_cselect_b32 s20, s36, s60                                // 00000000B844: 85143C24
	v_readlane_b32 s82, v3, 7                                  // 00000000B848: D2890052 00010F03
	s_and_b32 s82, s82, 0xffffff                               // 00000000B850: 8652FF52 00FFFFFF
	s_cmp_lt_u32 s82, s66                                      // 00000000B858: BF0A4252
	s_cselect_b32 s21, s36, s60                                // 00000000B85C: 85153C24
	s_mov_b64 exec, s[20:21]                                   // 00000000B860: BEFE0114
	global_atomic_add_f32 v6, v109, s[8:9]                     // 00000000B864: DD348000 00086D06
	s_mov_b64 exec, s[36:37]                                   // 00000000B86C: BEFE0124
	v_mov_b32_e32 v6, v62                                      // 00000000B870: 7E0C033E
	s_mov_b64 s[60:61], 0                                      // 00000000B874: BEBC0180
	v_readlane_b32 s82, v3, 8                                  // 00000000B878: D2890052 00011103
	s_and_b32 s82, s82, 0xffffff                               // 00000000B880: 8652FF52 00FFFFFF
	s_cmp_lt_u32 s82, s66                                      // 00000000B888: BF0A4252
	s_cselect_b32 s20, s36, s60                                // 00000000B88C: 85143C24
	v_readlane_b32 s82, v3, 9                                  // 00000000B890: D2890052 00011303
	s_and_b32 s82, s82, 0xffffff                               // 00000000B898: 8652FF52 00FFFFFF
	s_cmp_lt_u32 s82, s66                                      // 00000000B8A0: BF0A4252
	s_cselect_b32 s21, s36, s60                                // 00000000B8A4: 85153C24
	s_mov_b64 exec, s[20:21]                                   // 00000000B8A8: BEFE0114
	global_atomic_add_f32 v6, v112, s[8:9]                     // 00000000B8AC: DD348000 00087006
	s_mov_b64 exec, s[36:37]                                   // 00000000B8B4: BEFE0124
	v_mov_b32_e32 v6, v63                                      // 00000000B8B8: 7E0C033F
	s_mov_b64 s[60:61], 0                                      // 00000000B8BC: BEBC0180
	v_readlane_b32 s82, v3, 10                                 // 00000000B8C0: D2890052 00011503
	s_and_b32 s82, s82, 0xffffff                               // 00000000B8C8: 8652FF52 00FFFFFF
	s_cmp_lt_u32 s82, s66                                      // 00000000B8D0: BF0A4252
	s_cselect_b32 s20, s36, s60                                // 00000000B8D4: 85143C24
	v_readlane_b32 s82, v3, 11                                 // 00000000B8D8: D2890052 00011703
	s_and_b32 s82, s82, 0xffffff                               // 00000000B8E0: 8652FF52 00FFFFFF
	s_cmp_lt_u32 s82, s66                                      // 00000000B8E8: BF0A4252
	s_cselect_b32 s21, s36, s60                                // 00000000B8EC: 85153C24
	s_mov_b64 exec, s[20:21]                                   // 00000000B8F0: BEFE0114
	global_atomic_add_f32 v6, v113, s[8:9]                     // 00000000B8F4: DD348000 00087106
	s_mov_b64 exec, s[36:37]                                   // 00000000B8FC: BEFE0124
	v_mov_b32_e32 v6, v64                                      // 00000000B900: 7E0C0340
	s_mov_b64 s[60:61], 0                                      // 00000000B904: BEBC0180
	v_readlane_b32 s82, v3, 12                                 // 00000000B908: D2890052 00011903
	s_and_b32 s82, s82, 0xffffff                               // 00000000B910: 8652FF52 00FFFFFF
	s_cmp_lt_u32 s82, s66                                      // 00000000B918: BF0A4252
	s_cselect_b32 s20, s36, s60                                // 00000000B91C: 85143C24
	v_readlane_b32 s82, v3, 13                                 // 00000000B920: D2890052 00011B03
	s_and_b32 s82, s82, 0xffffff                               // 00000000B928: 8652FF52 00FFFFFF
	s_cmp_lt_u32 s82, s66                                      // 00000000B930: BF0A4252
	s_cselect_b32 s21, s36, s60                                // 00000000B934: 85153C24
	s_mov_b64 exec, s[20:21]                                   // 00000000B938: BEFE0114
	global_atomic_add_f32 v6, v116, s[8:9]                     // 00000000B93C: DD348000 00087406
	s_mov_b64 exec, s[36:37]                                   // 00000000B944: BEFE0124
	v_mov_b32_e32 v6, v65                                      // 00000000B948: 7E0C0341
	s_mov_b64 s[60:61], 0                                      // 00000000B94C: BEBC0180
	v_readlane_b32 s82, v3, 14                                 // 00000000B950: D2890052 00011D03
	s_and_b32 s82, s82, 0xffffff                               // 00000000B958: 8652FF52 00FFFFFF
	s_cmp_lt_u32 s82, s66                                      // 00000000B960: BF0A4252
	s_cselect_b32 s20, s36, s60                                // 00000000B964: 85143C24
	v_readlane_b32 s82, v3, 15                                 // 00000000B968: D2890052 00011F03
	s_and_b32 s82, s82, 0xffffff                               // 00000000B970: 8652FF52 00FFFFFF
	s_cmp_lt_u32 s82, s66                                      // 00000000B978: BF0A4252
	s_cselect_b32 s21, s36, s60                                // 00000000B97C: 85153C24
	s_mov_b64 exec, s[20:21]                                   // 00000000B980: BEFE0114
	global_atomic_add_f32 v6, v117, s[8:9]                     // 00000000B984: DD348000 00087506
	s_mov_b64 exec, s[36:37]                                   // 00000000B98C: BEFE0124
	v_mov_b32_e32 v6, v66                                      // 00000000B990: 7E0C0342
	s_mov_b64 s[60:61], 0                                      // 00000000B994: BEBC0180
	v_readlane_b32 s82, v3, 16                                 // 00000000B998: D2890052 00012103
	s_and_b32 s82, s82, 0xffffff                               // 00000000B9A0: 8652FF52 00FFFFFF
	s_cmp_lt_u32 s82, s66                                      // 00000000B9A8: BF0A4252
	s_cselect_b32 s20, s36, s60                                // 00000000B9AC: 85143C24
	v_readlane_b32 s82, v3, 17                                 // 00000000B9B0: D2890052 00012303
	s_and_b32 s82, s82, 0xffffff                               // 00000000B9B8: 8652FF52 00FFFFFF
	s_cmp_lt_u32 s82, s66                                      // 00000000B9C0: BF0A4252
	s_cselect_b32 s21, s36, s60                                // 00000000B9C4: 85153C24
	s_mov_b64 exec, s[20:21]                                   // 00000000B9C8: BEFE0114
	global_atomic_add_f32 v6, v120, s[8:9]                     // 00000000B9CC: DD348000 00087806
	s_mov_b64 exec, s[36:37]                                   // 00000000B9D4: BEFE0124
	v_mov_b32_e32 v6, v67                                      // 00000000B9D8: 7E0C0343
	s_mov_b64 s[60:61], 0                                      // 00000000B9DC: BEBC0180
	v_readlane_b32 s82, v3, 18                                 // 00000000B9E0: D2890052 00012503
	s_and_b32 s82, s82, 0xffffff                               // 00000000B9E8: 8652FF52 00FFFFFF
	s_cmp_lt_u32 s82, s66                                      // 00000000B9F0: BF0A4252
	s_cselect_b32 s20, s36, s60                                // 00000000B9F4: 85143C24
	v_readlane_b32 s82, v3, 19                                 // 00000000B9F8: D2890052 00012703
	s_and_b32 s82, s82, 0xffffff                               // 00000000BA00: 8652FF52 00FFFFFF
	s_cmp_lt_u32 s82, s66                                      // 00000000BA08: BF0A4252
	s_cselect_b32 s21, s36, s60                                // 00000000BA0C: 85153C24
	s_mov_b64 exec, s[20:21]                                   // 00000000BA10: BEFE0114
	global_atomic_add_f32 v6, v121, s[8:9]                     // 00000000BA14: DD348000 00087906
	s_mov_b64 exec, s[36:37]                                   // 00000000BA1C: BEFE0124
	v_mov_b32_e32 v6, v68                                      // 00000000BA20: 7E0C0344
	s_mov_b64 s[60:61], 0                                      // 00000000BA24: BEBC0180
	v_readlane_b32 s82, v3, 20                                 // 00000000BA28: D2890052 00012903
	s_and_b32 s82, s82, 0xffffff                               // 00000000BA30: 8652FF52 00FFFFFF
	s_cmp_lt_u32 s82, s66                                      // 00000000BA38: BF0A4252
	s_cselect_b32 s20, s36, s60                                // 00000000BA3C: 85143C24
	v_readlane_b32 s82, v3, 21                                 // 00000000BA40: D2890052 00012B03
	s_and_b32 s82, s82, 0xffffff                               // 00000000BA48: 8652FF52 00FFFFFF
	s_cmp_lt_u32 s82, s66                                      // 00000000BA50: BF0A4252
	s_cselect_b32 s21, s36, s60                                // 00000000BA54: 85153C24
	s_mov_b64 exec, s[20:21]                                   // 00000000BA58: BEFE0114
	global_atomic_add_f32 v6, v124, s[8:9]                     // 00000000BA5C: DD348000 00087C06
	s_mov_b64 exec, s[36:37]                                   // 00000000BA64: BEFE0124
	v_mov_b32_e32 v6, v69                                      // 00000000BA68: 7E0C0345
	s_mov_b64 s[60:61], 0                                      // 00000000BA6C: BEBC0180
	v_readlane_b32 s82, v3, 22                                 // 00000000BA70: D2890052 00012D03
	s_and_b32 s82, s82, 0xffffff                               // 00000000BA78: 8652FF52 00FFFFFF
	s_cmp_lt_u32 s82, s66                                      // 00000000BA80: BF0A4252
	s_cselect_b32 s20, s36, s60                                // 00000000BA84: 85143C24
	v_readlane_b32 s82, v3, 23                                 // 00000000BA88: D2890052 00012F03
	s_and_b32 s82, s82, 0xffffff                               // 00000000BA90: 8652FF52 00FFFFFF
	s_cmp_lt_u32 s82, s66                                      // 00000000BA98: BF0A4252
	s_cselect_b32 s21, s36, s60                                // 00000000BA9C: 85153C24
	s_mov_b64 exec, s[20:21]                                   // 00000000BAA0: BEFE0114
	global_atomic_add_f32 v6, v125, s[8:9]                     // 00000000BAA4: DD348000 00087D06
	s_mov_b64 exec, s[36:37]                                   // 00000000BAAC: BEFE0124
	v_mov_b32_e32 v6, v70                                      // 00000000BAB0: 7E0C0346
	s_mov_b64 s[60:61], 0                                      // 00000000BAB4: BEBC0180
	v_readlane_b32 s82, v3, 24                                 // 00000000BAB8: D2890052 00013103
	s_and_b32 s82, s82, 0xffffff                               // 00000000BAC0: 8652FF52 00FFFFFF
	s_cmp_lt_u32 s82, s66                                      // 00000000BAC8: BF0A4252
	s_cselect_b32 s20, s36, s60                                // 00000000BACC: 85143C24
	v_readlane_b32 s82, v3, 25                                 // 00000000BAD0: D2890052 00013303
	s_and_b32 s82, s82, 0xffffff                               // 00000000BAD8: 8652FF52 00FFFFFF
	s_cmp_lt_u32 s82, s66                                      // 00000000BAE0: BF0A4252
	s_cselect_b32 s21, s36, s60                                // 00000000BAE4: 85153C24
	s_mov_b64 exec, s[20:21]                                   // 00000000BAE8: BEFE0114
	global_atomic_add_f32 v6, v128, s[8:9]                     // 00000000BAEC: DD348000 00088006
	s_mov_b64 exec, s[36:37]                                   // 00000000BAF4: BEFE0124
	v_mov_b32_e32 v6, v71                                      // 00000000BAF8: 7E0C0347
	s_mov_b64 s[60:61], 0                                      // 00000000BAFC: BEBC0180
	v_readlane_b32 s82, v3, 26                                 // 00000000BB00: D2890052 00013503
	s_and_b32 s82, s82, 0xffffff                               // 00000000BB08: 8652FF52 00FFFFFF
	s_cmp_lt_u32 s82, s66                                      // 00000000BB10: BF0A4252
	s_cselect_b32 s20, s36, s60                                // 00000000BB14: 85143C24
	v_readlane_b32 s82, v3, 27                                 // 00000000BB18: D2890052 00013703
	s_and_b32 s82, s82, 0xffffff                               // 00000000BB20: 8652FF52 00FFFFFF
	s_cmp_lt_u32 s82, s66                                      // 00000000BB28: BF0A4252
	s_cselect_b32 s21, s36, s60                                // 00000000BB2C: 85153C24
	s_mov_b64 exec, s[20:21]                                   // 00000000BB30: BEFE0114
	global_atomic_add_f32 v6, v129, s[8:9]                     // 00000000BB34: DD348000 00088106
	s_mov_b64 exec, s[36:37]                                   // 00000000BB3C: BEFE0124
	ds_write_b64 v20, v[106:107]                               // 00000000BB40: D89A0000 00006A14
	ds_write_b64 v20, v[110:111] offset:2176                   // 00000000BB48: D89A0880 00006E14
	ds_write_b64 v20, v[114:115] offset:4352                   // 00000000BB50: D89A1100 00007214
	ds_write_b64 v20, v[118:119] offset:6528                   // 00000000BB58: D89A1980 00007614
	ds_write_b64 v20, v[122:123] offset:8704                   // 00000000BB60: D89A2200 00007A14
	ds_write_b64 v20, v[126:127] offset:10880                  // 00000000BB68: D89A2A80 00007E14
	ds_write_b64 v20, v[130:131] offset:13056                  // 00000000BB70: D89A3300 00008214
	s_waitcnt lgkmcnt(0)                                       // 00000000BB78: BF8CC07F
	s_barrier                                                  // 00000000BB7C: BF8A0000
	ds_read_b32 v106, v21                                      // 00000000BB80: D86C0000 6A000015
	ds_read_b32 v107, v21 offset:64                            // 00000000BB88: D86C0040 6B000015
	ds_read_b32 v110, v21 offset:2176                          // 00000000BB90: D86C0880 6E000015
	ds_read_b32 v111, v21 offset:2240                          // 00000000BB98: D86C08C0 6F000015
	ds_read_b32 v114, v21 offset:4352                          // 00000000BBA0: D86C1100 72000015
	ds_read_b32 v115, v21 offset:4416                          // 00000000BBA8: D86C1140 73000015
	ds_read_b32 v118, v21 offset:6528                          // 00000000BBB0: D86C1980 76000015
	ds_read_b32 v119, v21 offset:6592                          // 00000000BBB8: D86C19C0 77000015
	ds_read_b32 v122, v21 offset:8704                          // 00000000BBC0: D86C2200 7A000015
	ds_read_b32 v123, v21 offset:8768                          // 00000000BBC8: D86C2240 7B000015
	ds_read_b32 v126, v21 offset:10880                         // 00000000BBD0: D86C2A80 7E000015
	ds_read_b32 v127, v21 offset:10944                         // 00000000BBD8: D86C2AC0 7F000015
	ds_read_b32 v130, v21 offset:13056                         // 00000000BBE0: D86C3300 82000015
	ds_read_b32 v131, v21 offset:13120                         // 00000000BBE8: D86C3340 83000015
	s_waitcnt lgkmcnt(0)                                       // 00000000BBF0: BF8CC07F
	v_mov_b32_e32 v7, 0                                        // 00000000BBF4: 7E0E0280
	s_mov_b64 exec, s[36:37]                                   // 00000000BBF8: BEFE0124
	v_mov_b32_e32 v6, v58                                      // 00000000BBFC: 7E0C033A
	s_mov_b64 s[60:61], 0                                      // 00000000BC00: BEBC0180
	v_readlane_b32 s82, v3, 0                                  // 00000000BC04: D2890052 00010103
	s_and_b32 s82, s82, 0xffffff                               // 00000000BC0C: 8652FF52 00FFFFFF
	s_cmp_lt_u32 s82, s66                                      // 00000000BC14: BF0A4252
	s_cselect_b32 s20, s36, s60                                // 00000000BC18: 85143C24
	v_readlane_b32 s82, v3, 1                                  // 00000000BC1C: D2890052 00010303
	s_and_b32 s82, s82, 0xffffff                               // 00000000BC24: 8652FF52 00FFFFFF
	s_cmp_lt_u32 s82, s66                                      // 00000000BC2C: BF0A4252
	s_cselect_b32 s21, s36, s60                                // 00000000BC30: 85153C24
	s_mov_b64 exec, s[20:21]                                   // 00000000BC34: BEFE0114
	global_atomic_add_f32 v6, v106, s[8:9] offset:8            // 00000000BC38: DD348008 00086A06
	s_mov_b64 exec, s[36:37]                                   // 00000000BC40: BEFE0124
	v_mov_b32_e32 v6, v59                                      // 00000000BC44: 7E0C033B
	s_mov_b64 s[60:61], 0                                      // 00000000BC48: BEBC0180
	v_readlane_b32 s82, v3, 2                                  // 00000000BC4C: D2890052 00010503
	s_and_b32 s82, s82, 0xffffff                               // 00000000BC54: 8652FF52 00FFFFFF
	s_cmp_lt_u32 s82, s66                                      // 00000000BC5C: BF0A4252
	s_cselect_b32 s20, s36, s60                                // 00000000BC60: 85143C24
	v_readlane_b32 s82, v3, 3                                  // 00000000BC64: D2890052 00010703
	s_and_b32 s82, s82, 0xffffff                               // 00000000BC6C: 8652FF52 00FFFFFF
	s_cmp_lt_u32 s82, s66                                      // 00000000BC74: BF0A4252
	s_cselect_b32 s21, s36, s60                                // 00000000BC78: 85153C24
	s_mov_b64 exec, s[20:21]                                   // 00000000BC7C: BEFE0114
	global_atomic_add_f32 v6, v107, s[8:9] offset:8            // 00000000BC80: DD348008 00086B06
	s_mov_b64 exec, s[36:37]                                   // 00000000BC88: BEFE0124
	v_mov_b32_e32 v6, v60                                      // 00000000BC8C: 7E0C033C
	s_mov_b64 s[60:61], 0                                      // 00000000BC90: BEBC0180
	v_readlane_b32 s82, v3, 4                                  // 00000000BC94: D2890052 00010903
	s_and_b32 s82, s82, 0xffffff                               // 00000000BC9C: 8652FF52 00FFFFFF
	s_cmp_lt_u32 s82, s66                                      // 00000000BCA4: BF0A4252
	s_cselect_b32 s20, s36, s60                                // 00000000BCA8: 85143C24
	v_readlane_b32 s82, v3, 5                                  // 00000000BCAC: D2890052 00010B03
	s_and_b32 s82, s82, 0xffffff                               // 00000000BCB4: 8652FF52 00FFFFFF
	s_cmp_lt_u32 s82, s66                                      // 00000000BCBC: BF0A4252
	s_cselect_b32 s21, s36, s60                                // 00000000BCC0: 85153C24
	s_mov_b64 exec, s[20:21]                                   // 00000000BCC4: BEFE0114
	global_atomic_add_f32 v6, v110, s[8:9] offset:8            // 00000000BCC8: DD348008 00086E06
	s_mov_b64 exec, s[36:37]                                   // 00000000BCD0: BEFE0124
	v_mov_b32_e32 v6, v61                                      // 00000000BCD4: 7E0C033D
	s_mov_b64 s[60:61], 0                                      // 00000000BCD8: BEBC0180
	v_readlane_b32 s82, v3, 6                                  // 00000000BCDC: D2890052 00010D03
	s_and_b32 s82, s82, 0xffffff                               // 00000000BCE4: 8652FF52 00FFFFFF
	s_cmp_lt_u32 s82, s66                                      // 00000000BCEC: BF0A4252
	s_cselect_b32 s20, s36, s60                                // 00000000BCF0: 85143C24
	v_readlane_b32 s82, v3, 7                                  // 00000000BCF4: D2890052 00010F03
	s_and_b32 s82, s82, 0xffffff                               // 00000000BCFC: 8652FF52 00FFFFFF
	s_cmp_lt_u32 s82, s66                                      // 00000000BD04: BF0A4252
	s_cselect_b32 s21, s36, s60                                // 00000000BD08: 85153C24
	s_mov_b64 exec, s[20:21]                                   // 00000000BD0C: BEFE0114
	global_atomic_add_f32 v6, v111, s[8:9] offset:8            // 00000000BD10: DD348008 00086F06
	s_mov_b64 exec, s[36:37]                                   // 00000000BD18: BEFE0124
	v_mov_b32_e32 v6, v62                                      // 00000000BD1C: 7E0C033E
	s_mov_b64 s[60:61], 0                                      // 00000000BD20: BEBC0180
	v_readlane_b32 s82, v3, 8                                  // 00000000BD24: D2890052 00011103
	s_and_b32 s82, s82, 0xffffff                               // 00000000BD2C: 8652FF52 00FFFFFF
	s_cmp_lt_u32 s82, s66                                      // 00000000BD34: BF0A4252
	s_cselect_b32 s20, s36, s60                                // 00000000BD38: 85143C24
	v_readlane_b32 s82, v3, 9                                  // 00000000BD3C: D2890052 00011303
	s_and_b32 s82, s82, 0xffffff                               // 00000000BD44: 8652FF52 00FFFFFF
	s_cmp_lt_u32 s82, s66                                      // 00000000BD4C: BF0A4252
	s_cselect_b32 s21, s36, s60                                // 00000000BD50: 85153C24
	s_mov_b64 exec, s[20:21]                                   // 00000000BD54: BEFE0114
	global_atomic_add_f32 v6, v114, s[8:9] offset:8            // 00000000BD58: DD348008 00087206
	s_mov_b64 exec, s[36:37]                                   // 00000000BD60: BEFE0124
	v_mov_b32_e32 v6, v63                                      // 00000000BD64: 7E0C033F
	s_mov_b64 s[60:61], 0                                      // 00000000BD68: BEBC0180
	v_readlane_b32 s82, v3, 10                                 // 00000000BD6C: D2890052 00011503
	s_and_b32 s82, s82, 0xffffff                               // 00000000BD74: 8652FF52 00FFFFFF
	s_cmp_lt_u32 s82, s66                                      // 00000000BD7C: BF0A4252
	s_cselect_b32 s20, s36, s60                                // 00000000BD80: 85143C24
	v_readlane_b32 s82, v3, 11                                 // 00000000BD84: D2890052 00011703
	s_and_b32 s82, s82, 0xffffff                               // 00000000BD8C: 8652FF52 00FFFFFF
	s_cmp_lt_u32 s82, s66                                      // 00000000BD94: BF0A4252
	s_cselect_b32 s21, s36, s60                                // 00000000BD98: 85153C24
	s_mov_b64 exec, s[20:21]                                   // 00000000BD9C: BEFE0114
	global_atomic_add_f32 v6, v115, s[8:9] offset:8            // 00000000BDA0: DD348008 00087306
	s_mov_b64 exec, s[36:37]                                   // 00000000BDA8: BEFE0124
	v_mov_b32_e32 v6, v64                                      // 00000000BDAC: 7E0C0340
	s_mov_b64 s[60:61], 0                                      // 00000000BDB0: BEBC0180
	v_readlane_b32 s82, v3, 12                                 // 00000000BDB4: D2890052 00011903
	s_and_b32 s82, s82, 0xffffff                               // 00000000BDBC: 8652FF52 00FFFFFF
	s_cmp_lt_u32 s82, s66                                      // 00000000BDC4: BF0A4252
	s_cselect_b32 s20, s36, s60                                // 00000000BDC8: 85143C24
	v_readlane_b32 s82, v3, 13                                 // 00000000BDCC: D2890052 00011B03
	s_and_b32 s82, s82, 0xffffff                               // 00000000BDD4: 8652FF52 00FFFFFF
	s_cmp_lt_u32 s82, s66                                      // 00000000BDDC: BF0A4252
	s_cselect_b32 s21, s36, s60                                // 00000000BDE0: 85153C24
	s_mov_b64 exec, s[20:21]                                   // 00000000BDE4: BEFE0114
	global_atomic_add_f32 v6, v118, s[8:9] offset:8            // 00000000BDE8: DD348008 00087606
	s_mov_b64 exec, s[36:37]                                   // 00000000BDF0: BEFE0124
	v_mov_b32_e32 v6, v65                                      // 00000000BDF4: 7E0C0341
	s_mov_b64 s[60:61], 0                                      // 00000000BDF8: BEBC0180
	v_readlane_b32 s82, v3, 14                                 // 00000000BDFC: D2890052 00011D03
	s_and_b32 s82, s82, 0xffffff                               // 00000000BE04: 8652FF52 00FFFFFF
	s_cmp_lt_u32 s82, s66                                      // 00000000BE0C: BF0A4252
	s_cselect_b32 s20, s36, s60                                // 00000000BE10: 85143C24
	v_readlane_b32 s82, v3, 15                                 // 00000000BE14: D2890052 00011F03
	s_and_b32 s82, s82, 0xffffff                               // 00000000BE1C: 8652FF52 00FFFFFF
	s_cmp_lt_u32 s82, s66                                      // 00000000BE24: BF0A4252
	s_cselect_b32 s21, s36, s60                                // 00000000BE28: 85153C24
	s_mov_b64 exec, s[20:21]                                   // 00000000BE2C: BEFE0114
	global_atomic_add_f32 v6, v119, s[8:9] offset:8            // 00000000BE30: DD348008 00087706
	s_mov_b64 exec, s[36:37]                                   // 00000000BE38: BEFE0124
	v_mov_b32_e32 v6, v66                                      // 00000000BE3C: 7E0C0342
	s_mov_b64 s[60:61], 0                                      // 00000000BE40: BEBC0180
	v_readlane_b32 s82, v3, 16                                 // 00000000BE44: D2890052 00012103
	s_and_b32 s82, s82, 0xffffff                               // 00000000BE4C: 8652FF52 00FFFFFF
	s_cmp_lt_u32 s82, s66                                      // 00000000BE54: BF0A4252
	s_cselect_b32 s20, s36, s60                                // 00000000BE58: 85143C24
	v_readlane_b32 s82, v3, 17                                 // 00000000BE5C: D2890052 00012303
	s_and_b32 s82, s82, 0xffffff                               // 00000000BE64: 8652FF52 00FFFFFF
	s_cmp_lt_u32 s82, s66                                      // 00000000BE6C: BF0A4252
	s_cselect_b32 s21, s36, s60                                // 00000000BE70: 85153C24
	s_mov_b64 exec, s[20:21]                                   // 00000000BE74: BEFE0114
	global_atomic_add_f32 v6, v122, s[8:9] offset:8            // 00000000BE78: DD348008 00087A06
	s_mov_b64 exec, s[36:37]                                   // 00000000BE80: BEFE0124
	v_mov_b32_e32 v6, v67                                      // 00000000BE84: 7E0C0343
	s_mov_b64 s[60:61], 0                                      // 00000000BE88: BEBC0180
	v_readlane_b32 s82, v3, 18                                 // 00000000BE8C: D2890052 00012503
	s_and_b32 s82, s82, 0xffffff                               // 00000000BE94: 8652FF52 00FFFFFF
	s_cmp_lt_u32 s82, s66                                      // 00000000BE9C: BF0A4252
	s_cselect_b32 s20, s36, s60                                // 00000000BEA0: 85143C24
	v_readlane_b32 s82, v3, 19                                 // 00000000BEA4: D2890052 00012703
	s_and_b32 s82, s82, 0xffffff                               // 00000000BEAC: 8652FF52 00FFFFFF
	s_cmp_lt_u32 s82, s66                                      // 00000000BEB4: BF0A4252
	s_cselect_b32 s21, s36, s60                                // 00000000BEB8: 85153C24
	s_mov_b64 exec, s[20:21]                                   // 00000000BEBC: BEFE0114
	global_atomic_add_f32 v6, v123, s[8:9] offset:8            // 00000000BEC0: DD348008 00087B06
	s_mov_b64 exec, s[36:37]                                   // 00000000BEC8: BEFE0124
	v_mov_b32_e32 v6, v68                                      // 00000000BECC: 7E0C0344
	s_mov_b64 s[60:61], 0                                      // 00000000BED0: BEBC0180
	v_readlane_b32 s82, v3, 20                                 // 00000000BED4: D2890052 00012903
	s_and_b32 s82, s82, 0xffffff                               // 00000000BEDC: 8652FF52 00FFFFFF
	s_cmp_lt_u32 s82, s66                                      // 00000000BEE4: BF0A4252
	s_cselect_b32 s20, s36, s60                                // 00000000BEE8: 85143C24
	v_readlane_b32 s82, v3, 21                                 // 00000000BEEC: D2890052 00012B03
	s_and_b32 s82, s82, 0xffffff                               // 00000000BEF4: 8652FF52 00FFFFFF
	s_cmp_lt_u32 s82, s66                                      // 00000000BEFC: BF0A4252
	s_cselect_b32 s21, s36, s60                                // 00000000BF00: 85153C24
	s_mov_b64 exec, s[20:21]                                   // 00000000BF04: BEFE0114
	global_atomic_add_f32 v6, v126, s[8:9] offset:8            // 00000000BF08: DD348008 00087E06
	s_mov_b64 exec, s[36:37]                                   // 00000000BF10: BEFE0124
	v_mov_b32_e32 v6, v69                                      // 00000000BF14: 7E0C0345
	s_mov_b64 s[60:61], 0                                      // 00000000BF18: BEBC0180
	v_readlane_b32 s82, v3, 22                                 // 00000000BF1C: D2890052 00012D03
	s_and_b32 s82, s82, 0xffffff                               // 00000000BF24: 8652FF52 00FFFFFF
	s_cmp_lt_u32 s82, s66                                      // 00000000BF2C: BF0A4252
	s_cselect_b32 s20, s36, s60                                // 00000000BF30: 85143C24
	v_readlane_b32 s82, v3, 23                                 // 00000000BF34: D2890052 00012F03
	s_and_b32 s82, s82, 0xffffff                               // 00000000BF3C: 8652FF52 00FFFFFF
	s_cmp_lt_u32 s82, s66                                      // 00000000BF44: BF0A4252
	s_cselect_b32 s21, s36, s60                                // 00000000BF48: 85153C24
	s_mov_b64 exec, s[20:21]                                   // 00000000BF4C: BEFE0114
	global_atomic_add_f32 v6, v127, s[8:9] offset:8            // 00000000BF50: DD348008 00087F06
	s_mov_b64 exec, s[36:37]                                   // 00000000BF58: BEFE0124
	v_mov_b32_e32 v6, v70                                      // 00000000BF5C: 7E0C0346
	s_mov_b64 s[60:61], 0                                      // 00000000BF60: BEBC0180
	v_readlane_b32 s82, v3, 24                                 // 00000000BF64: D2890052 00013103
	s_and_b32 s82, s82, 0xffffff                               // 00000000BF6C: 8652FF52 00FFFFFF
	s_cmp_lt_u32 s82, s66                                      // 00000000BF74: BF0A4252
	s_cselect_b32 s20, s36, s60                                // 00000000BF78: 85143C24
	v_readlane_b32 s82, v3, 25                                 // 00000000BF7C: D2890052 00013303
	s_and_b32 s82, s82, 0xffffff                               // 00000000BF84: 8652FF52 00FFFFFF
	s_cmp_lt_u32 s82, s66                                      // 00000000BF8C: BF0A4252
	s_cselect_b32 s21, s36, s60                                // 00000000BF90: 85153C24
	s_mov_b64 exec, s[20:21]                                   // 00000000BF94: BEFE0114
	global_atomic_add_f32 v6, v130, s[8:9] offset:8            // 00000000BF98: DD348008 00088206
	s_mov_b64 exec, s[36:37]                                   // 00000000BFA0: BEFE0124
	v_mov_b32_e32 v6, v71                                      // 00000000BFA4: 7E0C0347
	s_mov_b64 s[60:61], 0                                      // 00000000BFA8: BEBC0180
	v_readlane_b32 s82, v3, 26                                 // 00000000BFAC: D2890052 00013503
	s_and_b32 s82, s82, 0xffffff                               // 00000000BFB4: 8652FF52 00FFFFFF
	s_cmp_lt_u32 s82, s66                                      // 00000000BFBC: BF0A4252
	s_cselect_b32 s20, s36, s60                                // 00000000BFC0: 85143C24
	v_readlane_b32 s82, v3, 27                                 // 00000000BFC4: D2890052 00013703
	s_and_b32 s82, s82, 0xffffff                               // 00000000BFCC: 8652FF52 00FFFFFF
	s_cmp_lt_u32 s82, s66                                      // 00000000BFD4: BF0A4252
	s_cselect_b32 s21, s36, s60                                // 00000000BFD8: 85153C24
	s_mov_b64 exec, s[20:21]                                   // 00000000BFDC: BEFE0114
	global_atomic_add_f32 v6, v131, s[8:9] offset:8            // 00000000BFE0: DD348008 00088306
	s_mov_b64 exec, s[36:37]                                   // 00000000BFE8: BEFE0124
	s_branch label_257F                                        // 00000000BFEC: BF820000

000000000000bff0 <label_257F>:
	s_waitcnt vmcnt(0) expcnt(0) lgkmcnt(0)                    // 00000000BFF0: BF8C0000
	s_endpgm                                                   // 00000000BFF4: BF810000
